;; amdgpu-corpus repo=ROCm/rocFFT kind=compiled arch=gfx1201 opt=O3
	.text
	.amdgcn_target "amdgcn-amd-amdhsa--gfx1201"
	.amdhsa_code_object_version 6
	.protected	bluestein_single_fwd_len1156_dim1_sp_op_CI_CI ; -- Begin function bluestein_single_fwd_len1156_dim1_sp_op_CI_CI
	.globl	bluestein_single_fwd_len1156_dim1_sp_op_CI_CI
	.p2align	8
	.type	bluestein_single_fwd_len1156_dim1_sp_op_CI_CI,@function
bluestein_single_fwd_len1156_dim1_sp_op_CI_CI: ; @bluestein_single_fwd_len1156_dim1_sp_op_CI_CI
; %bb.0:
	s_load_b128 s[16:19], s[0:1], 0x28
	v_mul_u32_u24_e32 v1, 0x3c4, v0
	s_mov_b32 s2, exec_lo
	s_delay_alu instid0(VALU_DEP_1) | instskip(NEXT) | instid1(VALU_DEP_1)
	v_lshrrev_b32_e32 v1, 16, v1
	v_mad_co_u64_u32 v[64:65], null, ttmp9, 3, v[1:2]
	v_mov_b32_e32 v65, 0
                                        ; kill: def $vgpr2 killed $sgpr0 killed $exec
	s_wait_kmcnt 0x0
	s_delay_alu instid0(VALU_DEP_1)
	v_cmpx_gt_u64_e64 s[16:17], v[64:65]
	s_cbranch_execz .LBB0_18
; %bb.1:
	s_clause 0x1
	s_load_b128 s[4:7], s[0:1], 0x18
	s_load_b128 s[8:11], s[0:1], 0x0
	v_mul_lo_u16 v1, 0x44, v1
	s_delay_alu instid0(VALU_DEP_1) | instskip(NEXT) | instid1(VALU_DEP_1)
	v_sub_nc_u16 v34, v0, v1
	v_and_b32_e32 v143, 0xffff, v34
	s_delay_alu instid0(VALU_DEP_1)
	v_lshlrev_b32_e32 v157, 3, v143
	s_wait_kmcnt 0x0
	s_load_b128 s[12:15], s[4:5], 0x0
	s_clause 0xe
	global_load_b64 v[42:43], v157, s[8:9]
	global_load_b64 v[79:80], v157, s[8:9] offset:544
	global_load_b64 v[54:55], v157, s[8:9] offset:1088
	;; [unrolled: 1-line block ×14, first 2 shown]
	s_wait_kmcnt 0x0
	v_mad_co_u64_u32 v[0:1], null, s14, v64, 0
	v_mad_co_u64_u32 v[2:3], null, s12, v143, 0
	s_mul_u64 s[2:3], s[12:13], 0x220
	s_delay_alu instid0(VALU_DEP_1) | instskip(NEXT) | instid1(VALU_DEP_1)
	v_mad_co_u64_u32 v[4:5], null, s15, v64, v[1:2]
	v_mad_co_u64_u32 v[5:6], null, s13, v143, v[3:4]
	v_mov_b32_e32 v1, v4
	s_delay_alu instid0(VALU_DEP_1) | instskip(NEXT) | instid1(VALU_DEP_3)
	v_lshlrev_b64_e32 v[0:1], 3, v[0:1]
	v_mov_b32_e32 v3, v5
	s_delay_alu instid0(VALU_DEP_2) | instskip(NEXT) | instid1(VALU_DEP_2)
	v_add_co_u32 v0, vcc_lo, s18, v0
	v_lshlrev_b64_e32 v[2:3], 3, v[2:3]
	s_delay_alu instid0(VALU_DEP_4) | instskip(NEXT) | instid1(VALU_DEP_2)
	v_add_co_ci_u32_e32 v1, vcc_lo, s19, v1, vcc_lo
	v_add_co_u32 v0, vcc_lo, v0, v2
	s_wait_alu 0xfffd
	s_delay_alu instid0(VALU_DEP_2) | instskip(NEXT) | instid1(VALU_DEP_2)
	v_add_co_ci_u32_e32 v1, vcc_lo, v1, v3, vcc_lo
	v_add_co_u32 v2, vcc_lo, v0, s2
	s_wait_alu 0xfffd
	s_delay_alu instid0(VALU_DEP_2) | instskip(NEXT) | instid1(VALU_DEP_2)
	;; [unrolled: 4-line block ×4, first 2 shown]
	v_add_co_ci_u32_e32 v7, vcc_lo, s3, v5, vcc_lo
	v_add_co_u32 v8, vcc_lo, v6, s2
	s_wait_alu 0xfffd
	s_delay_alu instid0(VALU_DEP_2)
	v_add_co_ci_u32_e32 v9, vcc_lo, s3, v7, vcc_lo
	s_clause 0x3
	global_load_b64 v[0:1], v[0:1], off
	global_load_b64 v[2:3], v[2:3], off
	;; [unrolled: 1-line block ×4, first 2 shown]
	v_add_co_u32 v10, vcc_lo, v8, s2
	s_wait_alu 0xfffd
	v_add_co_ci_u32_e32 v11, vcc_lo, s3, v9, vcc_lo
	global_load_b64 v[8:9], v[8:9], off
	v_add_co_u32 v12, vcc_lo, v10, s2
	s_wait_alu 0xfffd
	v_add_co_ci_u32_e32 v13, vcc_lo, s3, v11, vcc_lo
	global_load_b64 v[10:11], v[10:11], off
	;; [unrolled: 4-line block ×11, first 2 shown]
	v_add_co_u32 v32, vcc_lo, v30, s2
	s_wait_alu 0xfffd
	v_add_co_ci_u32_e32 v33, vcc_lo, s3, v31, vcc_lo
	global_load_b64 v[95:96], v157, s[8:9] offset:8160
	global_load_b64 v[37:38], v[30:31], off
	global_load_b64 v[97:98], v157, s[8:9] offset:8704
	global_load_b64 v[31:32], v[32:33], off
	v_mul_hi_u32 v30, 0xaaaaaaab, v64
	s_load_b128 s[4:7], s[6:7], 0x0
	s_load_b64 s[2:3], s[0:1], 0x38
	v_cmp_gt_u16_e32 vcc_lo, 34, v34
	s_delay_alu instid0(VALU_DEP_2) | instskip(NEXT) | instid1(VALU_DEP_1)
	v_lshrrev_b32_e32 v30, 1, v30
	v_lshl_add_u32 v30, v30, 1, v30
	s_delay_alu instid0(VALU_DEP_1) | instskip(NEXT) | instid1(VALU_DEP_1)
	v_sub_nc_u32_e32 v30, v64, v30
	v_mul_u32_u24_e32 v30, 0x484, v30
	s_wait_loadcnt 0x21
	scratch_store_b64 off, v[42:43], off offset:32 ; 8-byte Folded Spill
	s_wait_loadcnt 0x1f
	scratch_store_b64 off, v[54:55], off offset:48 ; 8-byte Folded Spill
	;; [unrolled: 2-line block ×3, first 2 shown]
	s_wait_loadcnt 0x15
	scratch_store_b64 off, v[44:45], off    ; 8-byte Folded Spill
	s_wait_loadcnt 0x13
	s_clause 0x2
	scratch_store_b64 off, v[46:47], off offset:8
	scratch_store_b64 off, v[50:51], off offset:24
	;; [unrolled: 1-line block ×3, first 2 shown]
	s_wait_loadcnt 0x12
	v_mul_f32_e32 v33, v0, v43
	s_wait_loadcnt 0x11
	v_mul_f32_e32 v41, v3, v80
	v_mul_f32_e32 v39, v1, v43
	s_wait_loadcnt 0xf
	v_mul_f32_e32 v43, v6, v84
	v_fma_f32 v40, v1, v42, -v33
	v_mul_f32_e32 v1, v2, v80
	v_dual_fmac_f32 v41, v2, v79 :: v_dual_mul_f32 v2, v7, v84
	v_lshlrev_b32_e32 v145, 3, v30
	v_mul_f32_e32 v33, v4, v55
	s_delay_alu instid0(VALU_DEP_3) | instskip(NEXT) | instid1(VALU_DEP_3)
	v_fmac_f32_e32 v2, v6, v83
	v_add_nc_u32_e32 v144, v157, v145
	s_wait_loadcnt 0xd
	v_mul_f32_e32 v6, v11, v94
	s_delay_alu instid0(VALU_DEP_2) | instskip(NEXT) | instid1(VALU_DEP_2)
	v_dual_fmac_f32 v39, v0, v42 :: v_dual_add_nc_u32 v36, 0x1800, v144
	v_fmac_f32_e32 v6, v10, v93
	v_dual_mul_f32 v0, v5, v55 :: v_dual_add_nc_u32 v35, 0x800, v144
	v_fma_f32 v42, v3, v79, -v1
	v_fma_f32 v1, v5, v54, -v33
	v_fma_f32 v3, v7, v83, -v43
	s_delay_alu instid0(VALU_DEP_4)
	v_fmac_f32_e32 v0, v4, v54
	v_mul_f32_e32 v4, v9, v90
	ds_store_2addr_b64 v144, v[39:40], v[41:42] offset1:68
	v_add_nc_u32_e32 v30, 0x1000, v144
	ds_store_2addr_b64 v144, v[0:1], v[2:3] offset0:136 offset1:204
	v_dual_fmac_f32 v4, v8, v89 :: v_dual_mul_f32 v1, v10, v94
	s_wait_loadcnt 0xc
	v_mul_f32_e32 v0, v13, v51
	s_wait_loadcnt 0xb
	v_dual_mul_f32 v3, v12, v51 :: v_dual_mul_f32 v2, v15, v53
	v_dual_mul_f32 v5, v8, v90 :: v_dual_mul_f32 v8, v14, v53
	v_fma_f32 v7, v11, v93, -v1
	v_fmac_f32_e32 v0, v12, v50
	s_delay_alu instid0(VALU_DEP_4)
	v_fma_f32 v1, v13, v50, -v3
	v_fmac_f32_e32 v2, v14, v52
	v_fma_f32 v5, v9, v89, -v5
	v_fma_f32 v3, v15, v52, -v8
	s_wait_loadcnt 0xa
	v_mul_f32_e32 v8, v17, v82
	ds_store_2addr_b64 v35, v[4:5], v[6:7] offset0:16 offset1:84
	s_wait_loadcnt 0x7
	v_dual_mul_f32 v7, v22, v92 :: v_dual_mul_f32 v4, v19, v86
	ds_store_2addr_b64 v35, v[0:1], v[2:3] offset0:152 offset1:220
	v_mul_f32_e32 v3, v20, v88
	v_dual_mul_f32 v1, v18, v86 :: v_dual_mul_f32 v0, v21, v88
	v_dual_mul_f32 v2, v23, v92 :: v_dual_mul_f32 v9, v16, v82
	v_fmac_f32_e32 v4, v18, v85
	s_wait_loadcnt 0x4
	v_dual_mul_f32 v6, v25, v45 :: v_dual_mul_f32 v13, v28, v47
	v_fma_f32 v5, v19, v85, -v1
	v_dual_fmac_f32 v0, v20, v87 :: v_dual_mul_f32 v11, v26, v49
	v_fma_f32 v1, v21, v87, -v3
	v_fma_f32 v3, v23, v91, -v7
	v_mul_f32_e32 v7, v24, v45
	v_mul_f32_e32 v10, v27, v49
	s_wait_loadcnt 0x2
	v_dual_fmac_f32 v2, v22, v91 :: v_dual_mul_f32 v15, v37, v96
	v_mul_f32_e32 v12, v29, v47
	v_mul_f32_e32 v14, v38, v96
	v_fmac_f32_e32 v8, v16, v81
	v_fma_f32 v9, v17, v81, -v9
	s_wait_loadcnt 0x0
	v_dual_fmac_f32 v6, v24, v44 :: v_dual_mul_f32 v17, v31, v98
	v_mul_f32_e32 v16, v32, v98
	v_fma_f32 v7, v25, v44, -v7
	v_fmac_f32_e32 v10, v26, v48
	v_fma_f32 v11, v27, v48, -v11
	v_fmac_f32_e32 v12, v28, v46
	;; [unrolled: 2-line block ×4, first 2 shown]
	v_fma_f32 v17, v32, v97, -v17
	ds_store_2addr_b64 v30, v[8:9], v[4:5] offset0:32 offset1:100
	ds_store_2addr_b64 v30, v[0:1], v[2:3] offset0:168 offset1:236
	;; [unrolled: 1-line block ×4, first 2 shown]
	ds_store_b64 v144, v[16:17] offset:8704
	global_wb scope:SCOPE_SE
	s_wait_storecnt_dscnt 0x0
	s_wait_kmcnt 0x0
	s_barrier_signal -1
	s_barrier_wait -1
	global_inv scope:SCOPE_SE
	ds_load_2addr_b64 v[24:27], v144 offset1:68
	ds_load_b64 v[28:29], v144 offset:8704
	ds_load_2addr_b64 v[37:40], v144 offset0:136 offset1:204
	ds_load_2addr_b64 v[20:23], v36 offset0:184 offset1:252
	ds_load_2addr_b64 v[12:15], v35 offset0:16 offset1:84
	ds_load_2addr_b64 v[16:19], v36 offset0:48 offset1:116
	ds_load_2addr_b64 v[4:7], v35 offset0:152 offset1:220
	ds_load_2addr_b64 v[0:3], v30 offset0:32 offset1:100
	ds_load_2addr_b64 v[8:11], v30 offset0:168 offset1:236
	global_wb scope:SCOPE_SE
	s_wait_dscnt 0x0
	s_barrier_signal -1
	s_barrier_wait -1
	global_inv scope:SCOPE_SE
	v_dual_add_f32 v31, v24, v26 :: v_dual_add_f32 v32, v25, v27
	v_add_f32_e32 v33, v28, v26
	v_dual_add_f32 v41, v29, v27 :: v_dual_sub_f32 v26, v26, v28
	v_sub_f32_e32 v53, v13, v19
	v_dual_sub_f32 v27, v27, v29 :: v_dual_sub_f32 v44, v37, v22
	v_add_f32_e32 v31, v31, v37
	v_dual_add_f32 v51, v19, v13 :: v_dual_add_f32 v32, v32, v38
	s_delay_alu instid0(VALU_DEP_3)
	v_dual_add_f32 v42, v22, v37 :: v_dual_mul_f32 v37, 0xbeb8f4ab, v27
	v_add_f32_e32 v43, v23, v38
	v_sub_f32_e32 v45, v38, v23
	v_dual_add_f32 v46, v20, v39 :: v_dual_mul_f32 v55, 0xbf2c7751, v26
	v_dual_sub_f32 v48, v39, v20 :: v_dual_mul_f32 v57, 0xbf65296c, v26
	v_dual_sub_f32 v49, v40, v21 :: v_dual_add_f32 v50, v18, v12
	v_mul_f32_e32 v59, 0xbf7ee86f, v26
	v_dual_sub_f32 v52, v12, v18 :: v_dual_mul_f32 v99, 0xbf06c442, v27
	s_delay_alu instid0(VALU_DEP_3)
	v_dual_mul_f32 v38, 0xbeb8f4ab, v26 :: v_dual_mul_f32 v125, 0xbeb8f4ab, v49
	v_dual_mul_f32 v54, 0xbf2c7751, v27 :: v_dual_mul_f32 v101, 0xbf2c7751, v45
	;; [unrolled: 1-line block ×6, first 2 shown]
	v_mul_f32_e32 v100, 0xbf06c442, v26
	v_dual_mul_f32 v27, 0xbe3c28d5, v27 :: v_dual_mul_f32 v26, 0xbe3c28d5, v26
	v_mul_f32_e32 v107, 0xbe3c28d5, v45
	v_dual_mul_f32 v102, 0xbf2c7751, v44 :: v_dual_add_f32 v31, v31, v39
	v_add_f32_e32 v32, v32, v40
	v_add_f32_e32 v47, v21, v40
	v_dual_mul_f32 v104, 0xbf7ee86f, v44 :: v_dual_mul_f32 v127, 0xbf7ee86f, v49
	v_dual_mul_f32 v105, 0xbf4c4adb, v45 :: v_dual_mul_f32 v106, 0xbf4c4adb, v44
	;; [unrolled: 1-line block ×13, first 2 shown]
	v_mul_f32_e32 v49, 0xbf06c442, v49
	v_dual_mul_f32 v133, 0x3f763a35, v53 :: v_dual_mul_f32 v134, 0x3f763a35, v52
	v_dual_mul_f32 v135, 0x3eb8f4ab, v53 :: v_dual_mul_f32 v136, 0x3eb8f4ab, v52
	v_mul_f32_e32 v139, 0xbf06c442, v53
	v_dual_mul_f32 v141, 0x3f4c4adb, v53 :: v_dual_mul_f32 v142, 0x3f4c4adb, v52
	v_dual_mul_f32 v53, 0x3f2c7751, v53 :: v_dual_add_f32 v12, v31, v12
	v_fma_f32 v39, 0x3f6eb680, v33, -v37
	v_dual_fmamk_f32 v40, v41, 0x3f6eb680, v38 :: v_dual_fmac_f32 v37, 0x3f6eb680, v33
	v_dual_mul_f32 v126, 0xbeb8f4ab, v48 :: v_dual_add_f32 v13, v32, v13
	v_mul_f32_e32 v48, 0xbf06c442, v48
	v_fma_f32 v38, 0x3f6eb680, v41, -v38
	v_fma_f32 v146, 0x3f3d2fb0, v33, -v54
	v_dual_fmamk_f32 v147, v41, 0x3f3d2fb0, v55 :: v_dual_fmac_f32 v54, 0x3f3d2fb0, v33
	v_fma_f32 v55, 0x3f3d2fb0, v41, -v55
	v_fma_f32 v148, 0x3ee437d1, v33, -v56
	v_dual_fmamk_f32 v149, v41, 0x3ee437d1, v57 :: v_dual_fmac_f32 v56, 0x3ee437d1, v33
	;; [unrolled: 3-line block ×5, first 2 shown]
	v_fma_f32 v156, 0xbf59a7d5, v33, -v99
	v_dual_fmamk_f32 v158, v41, 0xbf59a7d5, v100 :: v_dual_fmac_f32 v99, 0xbf59a7d5, v33
	v_fma_f32 v100, 0xbf59a7d5, v41, -v100
	v_fmamk_f32 v160, v41, 0xbf7ba420, v26
	v_dual_mul_f32 v130, 0xbf7ee86f, v52 :: v_dual_add_f32 v31, v24, v39
	v_dual_mul_f32 v132, 0xbe3c28d5, v52 :: v_dual_add_f32 v37, v24, v37
	;; [unrolled: 1-line block ×4, first 2 shown]
	v_fma_f32 v63, 0xbf1a4643, v41, -v63
	v_fma_f32 v159, 0xbf7ba420, v33, -v27
	v_fmac_f32_e32 v27, 0xbf7ba420, v33
	v_fma_f32 v26, 0xbf7ba420, v41, -v26
	v_fma_f32 v33, 0x3f3d2fb0, v42, -v101
	v_dual_fmac_f32 v101, 0x3f3d2fb0, v42 :: v_dual_fmamk_f32 v182, v47, 0x3f3d2fb0, v124
	v_fma_f32 v161, 0x3dbcf732, v42, -v103
	v_dual_fmamk_f32 v162, v43, 0x3dbcf732, v104 :: v_dual_fmac_f32 v103, 0x3dbcf732, v42
	v_fma_f32 v104, 0x3dbcf732, v43, -v104
	v_fma_f32 v163, 0xbf1a4643, v42, -v105
	v_dual_fmamk_f32 v164, v43, 0xbf1a4643, v106 :: v_dual_fmac_f32 v105, 0xbf1a4643, v42
	v_fma_f32 v106, 0xbf1a4643, v43, -v106
	;; [unrolled: 3-line block ×4, first 2 shown]
	v_fma_f32 v169, 0xbe8c1d8e, v42, -v111
	v_dual_fmamk_f32 v170, v43, 0xbe8c1d8e, v112 :: v_dual_fmac_f32 v111, 0xbe8c1d8e, v42
	v_fmamk_f32 v172, v43, 0x3ee437d1, v114
	v_fma_f32 v114, 0x3ee437d1, v43, -v114
	v_fma_f32 v173, 0x3f6eb680, v42, -v45
	v_dual_fmamk_f32 v174, v43, 0x3f6eb680, v44 :: v_dual_fmac_f32 v45, 0x3f6eb680, v42
	v_dual_fmamk_f32 v41, v43, 0x3f3d2fb0, v102 :: v_dual_add_f32 v32, v25, v40
	v_fma_f32 v102, 0x3f3d2fb0, v43, -v102
	v_fma_f32 v181, 0x3f3d2fb0, v46, -v123
	v_dual_fmac_f32 v123, 0x3f3d2fb0, v46 :: v_dual_add_f32 v40, v25, v147
	v_dual_fmamk_f32 v194, v51, 0x3f6eb680, v136 :: v_dual_add_f32 v147, v25, v149
	v_dual_add_f32 v38, v25, v38 :: v_dual_add_f32 v99, v24, v99
	v_dual_add_f32 v54, v24, v54 :: v_dual_add_f32 v57, v25, v57
	;; [unrolled: 1-line block ×10, first 2 shown]
	v_add_f32_e32 v100, v25, v100
	v_add_f32_e32 v158, v25, v160
	;; [unrolled: 1-line block ×3, first 2 shown]
	v_fma_f32 v112, 0xbe8c1d8e, v43, -v112
	v_fma_f32 v171, 0x3ee437d1, v42, -v113
	v_fmac_f32_e32 v113, 0x3ee437d1, v42
	v_fma_f32 v42, 0x3f6eb680, v43, -v44
	v_fma_f32 v43, 0x3ee437d1, v46, -v115
	v_dual_fmamk_f32 v44, v47, 0x3ee437d1, v116 :: v_dual_fmac_f32 v115, 0x3ee437d1, v46
	v_fma_f32 v175, 0xbf1a4643, v46, -v117
	v_fma_f32 v177, 0xbf7ba420, v46, -v119
	v_dual_fmamk_f32 v178, v47, 0xbf7ba420, v120 :: v_dual_fmac_f32 v119, 0xbf7ba420, v46
	;; [unrolled: 3-line block ×3, first 2 shown]
	v_fma_f32 v122, 0xbe8c1d8e, v47, -v122
	v_fma_f32 v124, 0x3f3d2fb0, v47, -v124
	v_fma_f32 v183, 0x3f6eb680, v46, -v125
	v_dual_fmamk_f32 v184, v47, 0x3f6eb680, v126 :: v_dual_fmac_f32 v125, 0x3f6eb680, v46
	v_fmamk_f32 v188, v47, 0xbf59a7d5, v48
	v_add_f32_e32 v62, v24, v62
	v_dual_add_f32 v156, v24, v159 :: v_dual_add_f32 v25, v25, v26
	v_add_f32_e32 v24, v24, v27
	v_add_f32_e32 v26, v33, v31
	;; [unrolled: 1-line block ×5, first 2 shown]
	v_dual_add_f32 v32, v102, v38 :: v_dual_add_f32 v59, v108, v59
	v_dual_add_f32 v33, v161, v39 :: v_dual_add_f32 v38, v103, v54
	v_add_f32_e32 v39, v104, v55
	v_dual_add_f32 v55, v106, v57 :: v_dual_add_f32 v40, v163, v146
	v_add_f32_e32 v57, v166, v149
	v_dual_add_f32 v41, v164, v147 :: v_dual_add_f32 v54, v105, v56
	v_dual_add_f32 v101, v167, v150 :: v_dual_add_f32 v56, v165, v148
	;; [unrolled: 1-line block ×3, first 2 shown]
	v_add_f32_e32 v103, v169, v152
	v_dual_add_f32 v60, v109, v60 :: v_dual_add_f32 v63, v112, v63
	v_dual_add_f32 v104, v170, v153 :: v_dual_add_f32 v99, v113, v99
	;; [unrolled: 1-line block ×5, first 2 shown]
	v_dual_fmamk_f32 v176, v47, 0xbf1a4643, v118 :: v_dual_fmac_f32 v117, 0xbf1a4643, v46
	v_fma_f32 v126, 0x3f6eb680, v47, -v126
	v_fma_f32 v187, 0xbf59a7d5, v46, -v49
	v_fmac_f32_e32 v49, 0xbf59a7d5, v46
	v_fma_f32 v193, 0x3f6eb680, v50, -v135
	v_dual_fmac_f32 v135, 0x3f6eb680, v50 :: v_dual_add_f32 v106, v172, v155
	v_dual_add_f32 v25, v42, v25 :: v_dual_add_f32 v26, v43, v26
	v_dual_add_f32 v37, v176, v37 :: v_dual_add_f32 v40, v177, v40
	;; [unrolled: 1-line block ×8, first 2 shown]
	v_add_f32_e32 v12, v12, v6
	v_fma_f32 v116, 0x3ee437d1, v47, -v116
	v_fma_f32 v118, 0xbf1a4643, v47, -v118
	;; [unrolled: 1-line block ×3, first 2 shown]
	v_dual_add_f32 v13, v13, v1 :: v_dual_fmamk_f32 v186, v47, 0x3dbcf732, v128
	v_fmac_f32_e32 v127, 0x3dbcf732, v46
	v_fma_f32 v128, 0x3dbcf732, v47, -v128
	v_fma_f32 v46, 0xbf59a7d5, v47, -v48
	;; [unrolled: 1-line block ×3, first 2 shown]
	v_dual_fmamk_f32 v48, v51, 0x3dbcf732, v130 :: v_dual_fmac_f32 v129, 0x3dbcf732, v50
	v_dual_add_f32 v24, v45, v24 :: v_dual_add_f32 v31, v115, v31
	v_dual_add_f32 v12, v12, v0 :: v_dual_add_f32 v13, v13, v3
	v_dual_add_f32 v45, v180, v57 :: v_dual_fmamk_f32 v196, v51, 0x3ee437d1, v138
	s_delay_alu instid0(VALU_DEP_2) | instskip(NEXT) | instid1(VALU_DEP_3)
	v_dual_add_f32 v31, v129, v31 :: v_dual_add_f32 v12, v12, v2
	v_add_f32_e32 v13, v13, v9
	v_fma_f32 v138, 0x3ee437d1, v51, -v138
	v_dual_add_f32 v62, v111, v62 :: v_dual_add_f32 v107, v173, v156
	s_delay_alu instid0(VALU_DEP_3) | instskip(SKIP_2) | instid1(VALU_DEP_3)
	v_dual_add_f32 v12, v12, v8 :: v_dual_add_f32 v13, v13, v11
	v_dual_add_f32 v24, v49, v24 :: v_dual_add_f32 v25, v46, v25
	v_add_f32_e32 v46, v135, v54
	v_dual_add_f32 v12, v12, v10 :: v_dual_add_f32 v45, v194, v45
	s_delay_alu instid0(VALU_DEP_4) | instskip(SKIP_2) | instid1(VALU_DEP_3)
	v_add_f32_e32 v13, v13, v17
	v_fma_f32 v197, 0xbf59a7d5, v50, -v139
	v_dual_fmamk_f32 v198, v51, 0xbf59a7d5, v140 :: v_dual_fmac_f32 v139, 0xbf59a7d5, v50
	v_dual_add_f32 v12, v12, v16 :: v_dual_add_f32 v13, v13, v19
	v_dual_add_f32 v102, v168, v151 :: v_dual_add_f32 v105, v171, v154
	;; [unrolled: 1-line block ×3, first 2 shown]
	s_delay_alu instid0(VALU_DEP_3) | instskip(NEXT) | instid1(VALU_DEP_2)
	v_dual_add_f32 v12, v12, v18 :: v_dual_add_f32 v49, v138, v59
	v_dual_add_f32 v13, v13, v21 :: v_dual_add_f32 v54, v139, v62
	v_fma_f32 v136, 0x3f6eb680, v51, -v136
	s_delay_alu instid0(VALU_DEP_3)
	v_add_f32_e32 v12, v12, v20
	v_fma_f32 v199, 0xbf1a4643, v50, -v141
	v_dual_fmamk_f32 v200, v51, 0xbf1a4643, v142 :: v_dual_fmac_f32 v141, 0xbf1a4643, v50
	v_dual_add_f32 v56, v181, v101 :: v_dual_add_f32 v57, v182, v102
	v_dual_add_f32 v101, v185, v105 :: v_dual_add_f32 v102, v186, v106
	;; [unrolled: 1-line block ×3, first 2 shown]
	v_fma_f32 v195, 0x3ee437d1, v50, -v137
	v_fmac_f32_e32 v137, 0x3ee437d1, v50
	v_dual_add_f32 v26, v47, v26 :: v_dual_add_f32 v27, v48, v27
	s_delay_alu instid0(VALU_DEP_3)
	v_dual_add_f32 v47, v136, v55 :: v_dual_add_f32 v48, v195, v56
	v_add_f32_e32 v55, v200, v102
	v_dual_add_f32 v12, v12, v28 :: v_dual_add_f32 v13, v13, v29
	v_dual_mul_f32 v28, 0x3f2c7751, v52 :: v_dual_add_f32 v29, v141, v99
	v_sub_f32_e32 v52, v15, v17
	v_dual_add_f32 v18, v196, v57 :: v_dual_add_f32 v19, v137, v58
	v_dual_add_f32 v20, v197, v60 :: v_dual_add_f32 v21, v198, v61
	s_delay_alu instid0(VALU_DEP_4) | instskip(NEXT) | instid1(VALU_DEP_4)
	v_dual_fmamk_f32 v58, v51, 0x3f3d2fb0, v28 :: v_dual_add_f32 v59, v16, v14
	v_dual_mul_f32 v60, 0xbf763a35, v52 :: v_dual_add_f32 v15, v17, v15
	v_sub_f32_e32 v14, v14, v16
	v_fma_f32 v130, 0x3dbcf732, v51, -v130
	v_fma_f32 v189, 0xbf7ba420, v50, -v131
	;; [unrolled: 1-line block ×3, first 2 shown]
	v_dual_fmac_f32 v53, 0x3f3d2fb0, v50 :: v_dual_add_f32 v32, v116, v32
	v_add_f32_e32 v39, v118, v39
	v_fma_f32 v16, 0x3f3d2fb0, v51, -v28
	v_fma_f32 v17, 0xbe8c1d8e, v59, -v60
	v_mul_f32_e32 v28, 0xbf763a35, v14
	v_dual_fmamk_f32 v190, v51, 0xbf7ba420, v132 :: v_dual_fmac_f32 v131, 0xbf7ba420, v50
	v_fma_f32 v191, 0xbe8c1d8e, v50, -v133
	v_dual_fmamk_f32 v192, v51, 0xbe8c1d8e, v134 :: v_dual_fmac_f32 v133, 0xbe8c1d8e, v50
	v_dual_add_f32 v32, v130, v32 :: v_dual_add_f32 v33, v189, v33
	v_dual_add_f32 v50, v58, v104 :: v_dual_add_f32 v17, v17, v26
	v_add_f32_e32 v24, v53, v24
	v_dual_add_f32 v16, v16, v25 :: v_dual_fmamk_f32 v25, v15, 0xbe8c1d8e, v28
	v_fmac_f32_e32 v60, 0xbe8c1d8e, v59
	v_mul_f32_e32 v26, 0x3f06c442, v52
	v_fma_f32 v132, 0xbf7ba420, v51, -v132
	v_fma_f32 v134, 0xbe8c1d8e, v51, -v134
	;; [unrolled: 1-line block ×3, first 2 shown]
	v_add_f32_e32 v31, v60, v31
	v_fma_f32 v142, 0xbf1a4643, v51, -v142
	v_mul_f32_e32 v51, 0x3f06c442, v14
	v_add_f32_e32 v25, v25, v27
	v_fma_f32 v27, 0xbf59a7d5, v59, -v26
	v_dual_add_f32 v38, v117, v38 :: v_dual_add_f32 v41, v178, v41
	v_dual_add_f32 v39, v132, v39 :: v_dual_add_f32 v40, v191, v40
	v_fma_f32 v28, 0xbe8c1d8e, v15, -v28
	s_delay_alu instid0(VALU_DEP_4) | instskip(SKIP_2) | instid1(VALU_DEP_4)
	v_add_f32_e32 v27, v27, v33
	v_fma_f32 v33, 0xbf59a7d5, v15, -v51
	v_dual_add_f32 v37, v190, v37 :: v_dual_add_f32 v38, v131, v38
	v_add_f32_e32 v28, v28, v32
	s_delay_alu instid0(VALU_DEP_3) | instskip(SKIP_3) | instid1(VALU_DEP_4)
	v_dual_fmamk_f32 v32, v15, 0xbf59a7d5, v51 :: v_dual_add_f32 v33, v33, v39
	v_mul_f32_e32 v53, 0x3f2c7751, v52
	v_mul_f32_e32 v51, 0x3f2c7751, v14
	v_dual_add_f32 v41, v192, v41 :: v_dual_add_f32 v42, v133, v42
	v_add_f32_e32 v32, v32, v37
	s_delay_alu instid0(VALU_DEP_4) | instskip(SKIP_3) | instid1(VALU_DEP_3)
	v_fma_f32 v37, 0x3f3d2fb0, v59, -v53
	v_fmac_f32_e32 v26, 0xbf59a7d5, v59
	v_fmamk_f32 v39, v15, 0x3f3d2fb0, v51
	v_dual_add_f32 v43, v134, v43 :: v_dual_add_f32 v44, v193, v44
	v_dual_add_f32 v37, v37, v40 :: v_dual_add_f32 v26, v26, v38
	s_delay_alu instid0(VALU_DEP_3) | instskip(SKIP_3) | instid1(VALU_DEP_4)
	v_dual_mul_f32 v38, 0xbf65296c, v52 :: v_dual_add_f32 v39, v39, v41
	v_fma_f32 v40, 0x3f3d2fb0, v15, -v51
	v_mul_f32_e32 v58, 0xbf65296c, v14
	v_dual_add_f32 v22, v140, v63 :: v_dual_add_f32 v23, v199, v101
	v_fma_f32 v51, 0x3ee437d1, v59, -v38
	v_fmac_f32_e32 v53, 0x3f3d2fb0, v59
	v_add_f32_e32 v40, v40, v43
	v_fmac_f32_e32 v38, 0x3ee437d1, v59
	v_dual_fmamk_f32 v43, v15, 0x3ee437d1, v58 :: v_dual_add_f32 v100, v128, v100
	v_add_f32_e32 v103, v187, v107
	v_dual_add_f32 v41, v53, v42 :: v_dual_add_f32 v42, v51, v44
	v_dual_mul_f32 v44, 0xbe3c28d5, v52 :: v_dual_mul_f32 v53, 0xbe3c28d5, v14
	s_delay_alu instid0(VALU_DEP_4) | instskip(SKIP_1) | instid1(VALU_DEP_3)
	v_dual_add_f32 v38, v38, v46 :: v_dual_add_f32 v43, v43, v45
	v_fma_f32 v51, 0x3ee437d1, v15, -v58
	v_fma_f32 v45, 0xbf7ba420, v59, -v44
	v_fmac_f32_e32 v44, 0xbf7ba420, v59
	v_dual_add_f32 v56, v142, v100 :: v_dual_add_f32 v57, v201, v103
	s_delay_alu instid0(VALU_DEP_4) | instskip(SKIP_4) | instid1(VALU_DEP_4)
	v_dual_add_f32 v46, v51, v47 :: v_dual_mul_f32 v51, 0x3f7ee86f, v52
	v_fmamk_f32 v47, v15, 0xbf7ba420, v53
	v_add_f32_e32 v45, v45, v48
	v_fma_f32 v48, 0xbf7ba420, v15, -v53
	v_mul_f32_e32 v53, 0x3f7ee86f, v14
	v_dual_add_f32 v19, v44, v19 :: v_dual_add_f32 v18, v47, v18
	v_fma_f32 v47, 0x3dbcf732, v59, -v51
	s_delay_alu instid0(VALU_DEP_4) | instskip(NEXT) | instid1(VALU_DEP_4)
	v_add_f32_e32 v44, v48, v49
	v_fma_f32 v49, 0x3dbcf732, v15, -v53
	s_delay_alu instid0(VALU_DEP_3) | instskip(NEXT) | instid1(VALU_DEP_2)
	v_dual_fmac_f32 v51, 0x3dbcf732, v59 :: v_dual_add_f32 v20, v47, v20
	v_dual_fmamk_f32 v47, v15, 0x3dbcf732, v53 :: v_dual_add_f32 v22, v49, v22
	s_delay_alu instid0(VALU_DEP_1) | instskip(NEXT) | instid1(VALU_DEP_3)
	v_dual_mul_f32 v48, 0xbeb8f4ab, v52 :: v_dual_add_f32 v21, v47, v21
	v_add_f32_e32 v47, v51, v54
	s_delay_alu instid0(VALU_DEP_2) | instskip(SKIP_3) | instid1(VALU_DEP_4)
	v_fma_f32 v53, 0x3f6eb680, v59, -v48
	v_fmac_f32_e32 v48, 0x3f6eb680, v59
	v_mul_f32_e32 v58, 0xbeb8f4ab, v14
	v_dual_mul_f32 v51, 0xbf4c4adb, v52 :: v_dual_mul_f32 v14, 0xbf4c4adb, v14
	v_add_f32_e32 v23, v53, v23
	s_delay_alu instid0(VALU_DEP_4) | instskip(NEXT) | instid1(VALU_DEP_4)
	v_add_f32_e32 v29, v48, v29
	v_fma_f32 v52, 0x3f6eb680, v15, -v58
	v_fmamk_f32 v49, v15, 0x3f6eb680, v58
	v_fma_f32 v53, 0xbf1a4643, v59, -v51
	v_dual_fmamk_f32 v54, v15, 0xbf1a4643, v14 :: v_dual_fmac_f32 v51, 0xbf1a4643, v59
	s_delay_alu instid0(VALU_DEP_3) | instskip(SKIP_1) | instid1(VALU_DEP_3)
	v_dual_add_f32 v48, v52, v56 :: v_dual_add_f32 v49, v49, v55
	v_sub_f32_e32 v52, v5, v11
	v_dual_add_f32 v53, v53, v57 :: v_dual_add_f32 v50, v54, v50
	v_add_f32_e32 v54, v10, v4
	v_dual_sub_f32 v4, v4, v10 :: v_dual_add_f32 v5, v11, v5
	s_delay_alu instid0(VALU_DEP_4) | instskip(SKIP_1) | instid1(VALU_DEP_2)
	v_mul_f32_e32 v10, 0xbf4c4adb, v52
	v_fma_f32 v14, 0xbf1a4643, v15, -v14
	v_fma_f32 v15, 0xbf1a4643, v54, -v10
	s_delay_alu instid0(VALU_DEP_1) | instskip(NEXT) | instid1(VALU_DEP_1)
	v_dual_add_f32 v15, v15, v17 :: v_dual_fmac_f32 v10, 0xbf1a4643, v54
	v_dual_mul_f32 v11, 0xbf4c4adb, v4 :: v_dual_add_f32 v10, v10, v31
	s_delay_alu instid0(VALU_DEP_1) | instskip(SKIP_3) | instid1(VALU_DEP_4)
	v_dual_add_f32 v24, v51, v24 :: v_dual_fmamk_f32 v51, v5, 0xbf1a4643, v11
	v_add_f32_e32 v14, v14, v16
	v_mul_f32_e32 v16, 0x3f763a35, v52
	v_fma_f32 v11, 0xbf1a4643, v5, -v11
	v_add_f32_e32 v25, v51, v25
	s_delay_alu instid0(VALU_DEP_3) | instskip(NEXT) | instid1(VALU_DEP_3)
	v_fma_f32 v17, 0xbe8c1d8e, v54, -v16
	v_add_f32_e32 v11, v11, v28
	s_delay_alu instid0(VALU_DEP_2) | instskip(NEXT) | instid1(VALU_DEP_1)
	v_dual_add_f32 v17, v17, v27 :: v_dual_fmac_f32 v16, 0xbe8c1d8e, v54
	v_dual_mul_f32 v51, 0x3f763a35, v4 :: v_dual_add_f32 v16, v16, v26
	s_delay_alu instid0(VALU_DEP_1) | instskip(SKIP_2) | instid1(VALU_DEP_3)
	v_fma_f32 v31, 0xbe8c1d8e, v5, -v51
	v_mul_f32_e32 v27, 0xbeb8f4ab, v52
	v_fmamk_f32 v28, v5, 0xbe8c1d8e, v51
	v_add_f32_e32 v26, v31, v33
	s_delay_alu instid0(VALU_DEP_3) | instskip(SKIP_2) | instid1(VALU_DEP_2)
	v_fma_f32 v55, 0x3f6eb680, v54, -v27
	v_mul_f32_e32 v51, 0xbeb8f4ab, v4
	v_fmac_f32_e32 v27, 0x3f6eb680, v54
	v_fmamk_f32 v31, v5, 0x3f6eb680, v51
	s_delay_alu instid0(VALU_DEP_2) | instskip(NEXT) | instid1(VALU_DEP_2)
	v_add_f32_e32 v27, v27, v41
	v_dual_add_f32 v31, v31, v39 :: v_dual_add_f32 v28, v28, v32
	v_dual_mul_f32 v39, 0xbf06c442, v4 :: v_dual_add_f32 v32, v55, v37
	v_fma_f32 v37, 0x3f6eb680, v5, -v51
	s_delay_alu instid0(VALU_DEP_2) | instskip(SKIP_2) | instid1(VALU_DEP_4)
	v_fmamk_f32 v41, v5, 0xbf59a7d5, v39
	v_fma_f32 v39, 0xbf59a7d5, v5, -v39
	v_mul_f32_e32 v33, 0xbf06c442, v52
	v_add_f32_e32 v37, v37, v40
	s_delay_alu instid0(VALU_DEP_4) | instskip(SKIP_1) | instid1(VALU_DEP_4)
	v_dual_mul_f32 v40, 0x3f7ee86f, v52 :: v_dual_add_f32 v41, v41, v43
	v_mul_f32_e32 v43, 0x3f7ee86f, v4
	v_fma_f32 v51, 0xbf59a7d5, v54, -v33
	v_fmac_f32_e32 v33, 0xbf59a7d5, v54
	s_delay_alu instid0(VALU_DEP_2) | instskip(SKIP_1) | instid1(VALU_DEP_3)
	v_add_f32_e32 v42, v51, v42
	v_fma_f32 v51, 0x3dbcf732, v54, -v40
	v_add_f32_e32 v33, v33, v38
	v_add_f32_e32 v38, v39, v46
	v_fmamk_f32 v46, v5, 0x3dbcf732, v43
	s_delay_alu instid0(VALU_DEP_4) | instskip(NEXT) | instid1(VALU_DEP_2)
	v_dual_fmac_f32 v40, 0x3dbcf732, v54 :: v_dual_add_f32 v39, v51, v45
	v_dual_mul_f32 v51, 0xbf2c7751, v4 :: v_dual_add_f32 v18, v46, v18
	s_delay_alu instid0(VALU_DEP_2) | instskip(NEXT) | instid1(VALU_DEP_2)
	v_add_f32_e32 v19, v40, v19
	v_fma_f32 v46, 0x3f3d2fb0, v5, -v51
	s_delay_alu instid0(VALU_DEP_1) | instskip(SKIP_2) | instid1(VALU_DEP_1)
	v_add_f32_e32 v22, v46, v22
	v_mul_f32_e32 v46, 0x3f65296c, v52
	v_fma_f32 v43, 0x3dbcf732, v5, -v43
	v_add_f32_e32 v40, v43, v44
	v_mul_f32_e32 v44, 0xbe3c28d5, v52
	v_fmamk_f32 v43, v5, 0x3f3d2fb0, v51
	s_delay_alu instid0(VALU_DEP_2) | instskip(NEXT) | instid1(VALU_DEP_1)
	v_fma_f32 v51, 0xbf7ba420, v54, -v44
	v_dual_fmac_f32 v44, 0xbf7ba420, v54 :: v_dual_add_f32 v23, v51, v23
	v_fma_f32 v51, 0x3ee437d1, v54, -v46
	v_mul_f32_e32 v45, 0xbf2c7751, v52
	s_delay_alu instid0(VALU_DEP_3) | instskip(NEXT) | instid1(VALU_DEP_3)
	v_dual_add_f32 v29, v44, v29 :: v_dual_fmac_f32 v46, 0x3ee437d1, v54
	v_add_f32_e32 v44, v51, v53
	s_delay_alu instid0(VALU_DEP_3) | instskip(NEXT) | instid1(VALU_DEP_3)
	v_fma_f32 v55, 0x3f3d2fb0, v54, -v45
	v_dual_fmac_f32 v45, 0x3f3d2fb0, v54 :: v_dual_add_f32 v24, v46, v24
	v_dual_sub_f32 v51, v6, v8 :: v_dual_add_f32 v6, v8, v6
	v_add_f32_e32 v21, v43, v21
	v_mul_f32_e32 v43, 0xbe3c28d5, v4
	s_delay_alu instid0(VALU_DEP_4) | instskip(NEXT) | instid1(VALU_DEP_2)
	v_dual_add_f32 v45, v45, v47 :: v_dual_mul_f32 v4, 0x3f65296c, v4
	v_dual_add_f32 v20, v55, v20 :: v_dual_fmamk_f32 v47, v5, 0xbf7ba420, v43
	s_delay_alu instid0(VALU_DEP_1) | instskip(NEXT) | instid1(VALU_DEP_3)
	v_add_f32_e32 v47, v47, v49
	v_fmamk_f32 v49, v5, 0x3ee437d1, v4
	v_fma_f32 v4, 0x3ee437d1, v5, -v4
	s_delay_alu instid0(VALU_DEP_1) | instskip(SKIP_1) | instid1(VALU_DEP_1)
	v_add_f32_e32 v4, v4, v14
	v_fma_f32 v43, 0xbf7ba420, v5, -v43
	v_add_f32_e32 v43, v43, v48
	v_dual_sub_f32 v48, v7, v9 :: v_dual_add_f32 v5, v9, v7
	v_mul_f32_e32 v7, 0xbf06c442, v51
	s_delay_alu instid0(VALU_DEP_2) | instskip(SKIP_1) | instid1(VALU_DEP_3)
	v_dual_add_f32 v9, v49, v50 :: v_dual_mul_f32 v8, 0xbf06c442, v48
	v_mul_f32_e32 v46, 0x3f65296c, v48
	v_fmamk_f32 v14, v5, 0xbf59a7d5, v7
	s_delay_alu instid0(VALU_DEP_3) | instskip(SKIP_1) | instid1(VALU_DEP_3)
	v_fma_f32 v49, 0xbf59a7d5, v6, -v8
	v_fmac_f32_e32 v8, 0xbf59a7d5, v6
	v_add_f32_e32 v14, v14, v25
	v_fma_f32 v25, 0x3ee437d1, v6, -v46
	s_delay_alu instid0(VALU_DEP_4) | instskip(NEXT) | instid1(VALU_DEP_4)
	v_dual_fmac_f32 v46, 0x3ee437d1, v6 :: v_dual_add_f32 v15, v49, v15
	v_dual_mul_f32 v49, 0x3f65296c, v51 :: v_dual_add_f32 v8, v8, v10
	v_mul_f32_e32 v10, 0xbf7ee86f, v48
	s_delay_alu instid0(VALU_DEP_3) | instskip(SKIP_2) | instid1(VALU_DEP_2)
	v_add_f32_e32 v16, v46, v16
	v_fma_f32 v7, 0xbf59a7d5, v5, -v7
	v_mul_f32_e32 v50, 0xbf7ee86f, v51
	v_add_f32_e32 v7, v7, v11
	v_add_f32_e32 v11, v25, v17
	v_fmamk_f32 v17, v5, 0x3ee437d1, v49
	v_fma_f32 v25, 0x3ee437d1, v5, -v49
	v_fma_f32 v49, 0x3dbcf732, v6, -v10
	v_fmac_f32_e32 v10, 0x3dbcf732, v6
	v_fma_f32 v46, 0x3dbcf732, v5, -v50
	v_add_f32_e32 v17, v17, v28
	v_add_f32_e32 v25, v25, v26
	;; [unrolled: 1-line block ×4, first 2 shown]
	v_dual_fmamk_f32 v28, v5, 0x3dbcf732, v50 :: v_dual_add_f32 v27, v46, v37
	v_dual_mul_f32 v32, 0x3f4c4adb, v48 :: v_dual_mul_f32 v49, 0x3f4c4adb, v51
	s_delay_alu instid0(VALU_DEP_2) | instskip(NEXT) | instid1(VALU_DEP_2)
	v_add_f32_e32 v28, v28, v31
	v_fma_f32 v31, 0xbf1a4643, v6, -v32
	v_mul_f32_e32 v46, 0xbeb8f4ab, v48
	v_fmac_f32_e32 v32, 0xbf1a4643, v6
	s_delay_alu instid0(VALU_DEP_3) | instskip(SKIP_1) | instid1(VALU_DEP_3)
	v_add_f32_e32 v31, v31, v42
	v_fma_f32 v42, 0xbf1a4643, v5, -v49
	v_add_f32_e32 v50, v32, v33
	v_mul_f32_e32 v32, 0xbe3c28d5, v48
	s_delay_alu instid0(VALU_DEP_3) | instskip(SKIP_1) | instid1(VALU_DEP_3)
	v_dual_add_f32 v38, v42, v38 :: v_dual_fmamk_f32 v37, v5, 0xbf1a4643, v49
	v_mul_f32_e32 v49, 0xbeb8f4ab, v51
	v_fma_f32 v42, 0xbf7ba420, v6, -v32
	s_delay_alu instid0(VALU_DEP_3) | instskip(SKIP_1) | instid1(VALU_DEP_3)
	v_dual_fmac_f32 v32, 0xbf7ba420, v6 :: v_dual_add_f32 v37, v37, v41
	v_fma_f32 v41, 0x3f6eb680, v6, -v46
	v_dual_fmamk_f32 v33, v5, 0x3f6eb680, v49 :: v_dual_add_f32 v20, v42, v20
	s_delay_alu instid0(VALU_DEP_2) | instskip(NEXT) | instid1(VALU_DEP_2)
	v_dual_fmac_f32 v46, 0x3f6eb680, v6 :: v_dual_add_f32 v39, v41, v39
	v_add_f32_e32 v18, v33, v18
	v_fma_f32 v41, 0x3f6eb680, v5, -v49
	v_mul_f32_e32 v49, 0xbe3c28d5, v51
	s_delay_alu instid0(VALU_DEP_4) | instskip(SKIP_1) | instid1(VALU_DEP_4)
	v_add_f32_e32 v19, v46, v19
	v_dual_mul_f32 v46, 0x3f2c7751, v51 :: v_dual_add_f32 v45, v32, v45
	v_add_f32_e32 v40, v41, v40
	v_mul_f32_e32 v41, 0x3f2c7751, v48
	v_fma_f32 v42, 0xbf7ba420, v5, -v49
	v_fmamk_f32 v33, v5, 0xbf7ba420, v49
	v_mul_f32_e32 v32, 0xbf763a35, v48
	s_delay_alu instid0(VALU_DEP_2) | instskip(SKIP_2) | instid1(VALU_DEP_2)
	v_dual_add_f32 v42, v42, v22 :: v_dual_add_f32 v21, v33, v21
	v_fma_f32 v33, 0x3f3d2fb0, v6, -v41
	v_dual_fmamk_f32 v22, v5, 0x3f3d2fb0, v46 :: v_dual_fmac_f32 v41, 0x3f3d2fb0, v6
	v_add_f32_e32 v48, v33, v23
	v_fma_f32 v23, 0x3f3d2fb0, v5, -v46
	s_delay_alu instid0(VALU_DEP_3) | instskip(SKIP_2) | instid1(VALU_DEP_4)
	v_dual_add_f32 v46, v22, v47 :: v_dual_add_f32 v29, v41, v29
	v_fma_f32 v22, 0xbe8c1d8e, v6, -v32
	v_mul_f32_e32 v33, 0xbf763a35, v51
	v_add_f32_e32 v41, v23, v43
	v_dual_sub_f32 v43, v1, v3 :: v_dual_fmac_f32 v32, 0xbe8c1d8e, v6
	s_delay_alu instid0(VALU_DEP_4) | instskip(NEXT) | instid1(VALU_DEP_4)
	v_add_f32_e32 v44, v22, v44
	v_dual_fmamk_f32 v22, v5, 0xbe8c1d8e, v33 :: v_dual_add_f32 v47, v2, v0
	s_delay_alu instid0(VALU_DEP_3) | instskip(SKIP_1) | instid1(VALU_DEP_3)
	v_dual_sub_f32 v49, v0, v2 :: v_dual_mul_f32 v2, 0xbe3c28d5, v43
	v_fma_f32 v0, 0xbe8c1d8e, v5, -v33
	v_add_f32_e32 v52, v22, v9
	v_add_f32_e32 v51, v3, v1
	v_mul_f32_e32 v5, 0x3eb8f4ab, v43
	v_fma_f32 v3, 0xbf7ba420, v47, -v2
	v_dual_mul_f32 v1, 0xbe3c28d5, v49 :: v_dual_add_f32 v54, v0, v4
	v_mul_f32_e32 v22, 0xbf4c4adb, v43
	v_mul_f32_e32 v23, 0x3f65296c, v43
	s_delay_alu instid0(VALU_DEP_4) | instskip(NEXT) | instid1(VALU_DEP_4)
	v_dual_add_f32 v0, v3, v15 :: v_dual_add_f32 v53, v32, v24
	v_fmamk_f32 v4, v51, 0xbf7ba420, v1
	v_fmac_f32_e32 v2, 0xbf7ba420, v47
	v_fma_f32 v3, 0xbf7ba420, v51, -v1
	s_delay_alu instid0(VALU_DEP_3) | instskip(SKIP_1) | instid1(VALU_DEP_3)
	v_dual_add_f32 v1, v4, v14 :: v_dual_mul_f32 v4, 0x3eb8f4ab, v49
	v_fma_f32 v6, 0x3f6eb680, v47, -v5
	v_dual_add_f32 v32, v2, v8 :: v_dual_add_f32 v33, v3, v7
	v_mul_f32_e32 v14, 0x3f2c7751, v43
	s_delay_alu instid0(VALU_DEP_3) | instskip(SKIP_2) | instid1(VALU_DEP_4)
	v_dual_fmamk_f32 v3, v51, 0x3f6eb680, v4 :: v_dual_add_f32 v2, v6, v11
	v_mul_f32_e32 v8, 0xbf06c442, v43
	v_fma_f32 v6, 0x3f6eb680, v51, -v4
	v_fma_f32 v15, 0x3f3d2fb0, v47, -v14
	s_delay_alu instid0(VALU_DEP_4) | instskip(NEXT) | instid1(VALU_DEP_4)
	v_add_f32_e32 v3, v3, v17
	v_fma_f32 v7, 0xbf59a7d5, v47, -v8
	v_fmac_f32_e32 v5, 0x3f6eb680, v47
	v_mul_f32_e32 v9, 0xbf06c442, v49
	v_fmac_f32_e32 v8, 0xbf59a7d5, v47
	s_delay_alu instid0(VALU_DEP_3) | instskip(SKIP_1) | instid1(VALU_DEP_4)
	v_dual_mul_f32 v11, 0x3f2c7751, v49 :: v_dual_add_f32 v4, v5, v16
	v_dual_add_f32 v5, v6, v25 :: v_dual_add_f32 v6, v7, v26
	v_fmamk_f32 v7, v51, 0xbf59a7d5, v9
	v_fma_f32 v9, 0xbf59a7d5, v51, -v9
	v_add_f32_e32 v8, v8, v10
	v_fmamk_f32 v16, v51, 0x3f3d2fb0, v11
	v_add_f32_e32 v10, v15, v31
	v_fma_f32 v15, 0x3f3d2fb0, v51, -v11
	v_add_f32_e32 v9, v9, v27
	v_dual_add_f32 v7, v7, v28 :: v_dual_fmac_f32 v14, 0x3f3d2fb0, v47
	v_add_f32_e32 v11, v16, v37
	s_delay_alu instid0(VALU_DEP_4) | instskip(SKIP_3) | instid1(VALU_DEP_3)
	v_add_f32_e32 v15, v15, v38
	v_mul_f32_e32 v17, 0xbf4c4adb, v49
	v_fma_f32 v16, 0xbf1a4643, v47, -v22
	v_dual_add_f32 v14, v14, v50 :: v_dual_mul_f32 v31, 0x3f7ee86f, v43
	v_fma_f32 v25, 0xbf1a4643, v51, -v17
	v_fmamk_f32 v24, v51, 0xbf1a4643, v17
	v_fmac_f32_e32 v22, 0xbf1a4643, v47
	v_add_f32_e32 v16, v16, v39
	v_fma_f32 v37, 0x3dbcf732, v47, -v31
	v_fmac_f32_e32 v31, 0x3dbcf732, v47
	v_dual_add_f32 v17, v24, v18 :: v_dual_mul_f32 v24, 0x3f65296c, v49
	v_fma_f32 v26, 0x3ee437d1, v47, -v23
	v_dual_add_f32 v18, v22, v19 :: v_dual_add_f32 v19, v25, v40
	v_mul_f32_e32 v25, 0xbf763a35, v49
	s_delay_alu instid0(VALU_DEP_3) | instskip(NEXT) | instid1(VALU_DEP_2)
	v_dual_fmac_f32 v23, 0x3ee437d1, v47 :: v_dual_add_f32 v20, v26, v20
	v_fmamk_f32 v28, v51, 0xbe8c1d8e, v25
	v_fmamk_f32 v22, v51, 0x3ee437d1, v24
	v_mul_f32_e32 v26, 0xbf763a35, v43
	v_fma_f32 v24, 0x3ee437d1, v51, -v24
	s_delay_alu instid0(VALU_DEP_3) | instskip(NEXT) | instid1(VALU_DEP_3)
	v_add_f32_e32 v21, v22, v21
	v_fma_f32 v27, 0xbe8c1d8e, v47, -v26
	s_delay_alu instid0(VALU_DEP_3) | instskip(NEXT) | instid1(VALU_DEP_2)
	v_dual_add_f32 v22, v23, v45 :: v_dual_add_f32 v23, v24, v42
	v_add_f32_e32 v24, v27, v48
	v_fma_f32 v27, 0xbe8c1d8e, v51, -v25
	v_dual_fmac_f32 v26, 0xbe8c1d8e, v47 :: v_dual_add_f32 v25, v28, v46
	v_mul_f32_e32 v28, 0x3f7ee86f, v49
	s_delay_alu instid0(VALU_DEP_3) | instskip(NEXT) | instid1(VALU_DEP_3)
	v_add_f32_e32 v27, v27, v41
	v_add_f32_e32 v26, v26, v29
	v_mul_lo_u16 v29, v34, 17
	s_delay_alu instid0(VALU_DEP_4) | instskip(SKIP_2) | instid1(VALU_DEP_3)
	v_fmamk_f32 v38, v51, 0x3dbcf732, v28
	v_fma_f32 v39, 0x3dbcf732, v51, -v28
	v_dual_add_f32 v28, v37, v44 :: v_dual_add_f32 v37, v31, v53
	v_dual_add_f32 v29, v38, v52 :: v_dual_and_b32 v40, 0xffff, v29
	s_delay_alu instid0(VALU_DEP_3) | instskip(NEXT) | instid1(VALU_DEP_2)
	v_add_f32_e32 v38, v39, v54
                                        ; implicit-def: $vgpr34
	v_lshl_add_u32 v146, v40, 3, v145
	ds_store_2addr_b64 v146, v[12:13], v[0:1] offset1:1
	ds_store_2addr_b64 v146, v[2:3], v[6:7] offset0:2 offset1:3
	ds_store_2addr_b64 v146, v[10:11], v[16:17] offset0:4 offset1:5
	;; [unrolled: 1-line block ×7, first 2 shown]
	ds_store_b64 v146, v[32:33] offset:128
	v_add_nc_u32_e32 v8, 0x1400, v144
	v_add_nc_u32_e32 v20, 0x1c00, v144
	global_wb scope:SCOPE_SE
	s_wait_dscnt 0x0
	s_barrier_signal -1
	s_barrier_wait -1
	global_inv scope:SCOPE_SE
	ds_load_2addr_b64 v[4:7], v144 offset1:68
	ds_load_2addr_b64 v[16:19], v30 offset0:66 offset1:134
	ds_load_2addr_b64 v[0:3], v144 offset0:136 offset1:204
	;; [unrolled: 1-line block ×7, first 2 shown]
	s_and_saveexec_b32 s0, vcc_lo
	s_cbranch_execz .LBB0_3
; %bb.2:
	ds_load_b64 v[32:33], v144 offset:4352
	ds_load_b64 v[34:35], v144 offset:8976
.LBB0_3:
	s_wait_alu 0xfffe
	s_or_b32 exec_lo, exec_lo, s0
	v_add_nc_u16 v36, v143, 0x44
	v_add_nc_u16 v37, v143, 0x88
	v_add_co_u32 v38, null, 0xcc, v143
	v_and_b32_e32 v39, 0xff, v143
	s_delay_alu instid0(VALU_DEP_4) | instskip(NEXT) | instid1(VALU_DEP_4)
	v_and_b32_e32 v40, 0xff, v36
	v_and_b32_e32 v41, 0xff, v37
	s_delay_alu instid0(VALU_DEP_4)
	v_and_b32_e32 v42, 0xffff, v38
	v_add_co_u32 v43, null, 0x110, v143
	v_mul_lo_u16 v39, 0xf1, v39
	v_mul_lo_u16 v40, 0xf1, v40
	;; [unrolled: 1-line block ×3, first 2 shown]
	v_mul_u32_u24_e32 v42, 0xf0f1, v42
	v_add_co_u32 v49, null, 0x198, v143
	v_lshrrev_b16 v39, 12, v39
	v_lshrrev_b16 v40, 12, v40
	;; [unrolled: 1-line block ×3, first 2 shown]
	v_lshrrev_b32_e32 v42, 20, v42
	v_add_co_u32 v44, null, 0x154, v143
	v_mul_lo_u16 v45, v39, 17
	v_mul_lo_u16 v46, v40, 17
	;; [unrolled: 1-line block ×4, first 2 shown]
	v_add_co_u32 v117, s0, 0x220, v143
	v_sub_nc_u16 v45, v143, v45
	v_sub_nc_u16 v36, v36, v46
	;; [unrolled: 1-line block ×4, first 2 shown]
	v_and_b32_e32 v53, 0xffff, v44
	v_and_b32_e32 v47, 0xff, v45
	;; [unrolled: 1-line block ×5, first 2 shown]
	v_add_co_u32 v46, null, 0x1dc, v143
	v_lshlrev_b32_e32 v47, 3, v47
	v_lshlrev_b32_e32 v50, 3, v36
	;; [unrolled: 1-line block ×4, first 2 shown]
	s_clause 0x3
	global_load_b64 v[105:106], v47, s[10:11]
	global_load_b64 v[103:104], v50, s[10:11]
	;; [unrolled: 1-line block ×4, first 2 shown]
	v_and_b32_e32 v52, 0xffff, v43
	v_and_b32_e32 v47, 0xffff, v49
	v_mul_u32_u24_e32 v51, 0xf0f1, v53
	v_mad_u16 v39, v39, 34, v45
	v_mad_u16 v38, v42, 34, v38
	v_mul_u32_u24_e32 v48, 0xf0f1, v52
	v_and_b32_e32 v52, 0xffff, v117
	v_mul_u32_u24_e32 v47, 0xf0f1, v47
	v_lshrrev_b32_e32 v51, 20, v51
	v_and_b32_e32 v39, 0xff, v39
	v_lshrrev_b32_e32 v48, 20, v48
	v_mul_u32_u24_e32 v52, 0xf0f1, v52
	v_lshrrev_b32_e32 v47, 20, v47
	v_mul_lo_u16 v54, v51, 17
	v_and_b32_e32 v40, 0xffff, v40
	v_mul_lo_u16 v53, v48, 17
	v_lshrrev_b32_e32 v55, 20, v52
	v_mul_lo_u16 v52, v47, 17
	v_sub_nc_u16 v44, v44, v54
	v_lshl_add_u32 v57, v39, 3, v145
	v_sub_nc_u16 v43, v43, v53
	v_mul_lo_u16 v54, v55, 17
	v_sub_nc_u16 v49, v49, v52
	v_mul_u32_u24_e32 v40, 34, v40
	s_wait_alu 0xf1ff
	v_add_co_ci_u32_e64 v118, null, 0, 0, s0
	v_and_b32_e32 v52, 0xffff, v43
	v_mad_u16 v42, v48, 34, v43
	v_sub_nc_u16 v56, v117, v54
	scratch_store_b32 off, v55, off offset:56 ; 4-byte Folded Spill
	v_mad_u16 v43, v51, 34, v44
	v_lshlrev_b32_e32 v52, 3, v52
	v_and_b32_e32 v39, 0xffff, v42
	v_and_b32_e32 v54, 0xffff, v49
	scratch_store_b32 off, v56, off offset:60 ; 4-byte Folded Spill
	global_load_b64 v[115:116], v52, s[10:11]
	v_and_b32_e32 v50, 0xffff, v46
	s_delay_alu instid0(VALU_DEP_1) | instskip(NEXT) | instid1(VALU_DEP_1)
	v_mul_u32_u24_e32 v50, 0xf0f1, v50
	v_lshrrev_b32_e32 v50, 20, v50
	s_delay_alu instid0(VALU_DEP_1) | instskip(NEXT) | instid1(VALU_DEP_1)
	v_mul_lo_u16 v53, v50, 17
	v_sub_nc_u16 v46, v46, v53
	v_and_b32_e32 v53, 0xffff, v44
	v_mad_u16 v44, v47, 34, v49
	s_delay_alu instid0(VALU_DEP_3) | instskip(NEXT) | instid1(VALU_DEP_3)
	v_and_b32_e32 v55, 0xffff, v46
	v_lshlrev_b32_e32 v53, 3, v53
	v_mad_u16 v45, v50, 34, v46
	global_load_b64 v[113:114], v53, s[10:11]
	v_lshlrev_b32_e32 v52, 3, v55
	v_lshl_add_u32 v55, v39, 3, v145
	s_wait_loadcnt_dscnt 0x304
	v_mul_f32_e32 v39, v28, v102
	v_add_nc_u32_e32 v36, v40, v36
	s_delay_alu instid0(VALU_DEP_2) | instskip(SKIP_2) | instid1(VALU_DEP_1)
	v_dual_fmac_f32 v39, v29, v101 :: v_dual_and_b32 v40, 0xffff, v43
	s_wait_loadcnt_dscnt 0x102
	v_dual_mul_f32 v43, v24, v116 :: v_dual_and_b32 v42, 0xffff, v45
	v_dual_fmac_f32 v43, v25, v115 :: v_dual_and_b32 v56, 0xffff, v56
	s_delay_alu instid0(VALU_DEP_1) | instskip(SKIP_2) | instid1(VALU_DEP_1)
	v_lshlrev_b32_e32 v53, 3, v56
	s_wait_loadcnt 0x0
	v_mul_f32_e32 v45, v26, v114
	v_dual_fmac_f32 v45, v27, v113 :: v_dual_lshlrev_b32 v54, 3, v54
	s_clause 0x2
	global_load_b64 v[111:112], v54, s[10:11]
	global_load_b64 v[109:110], v52, s[10:11]
	;; [unrolled: 1-line block ×3, first 2 shown]
	v_lshl_add_u32 v54, v40, 3, v145
	v_mul_f32_e32 v40, v31, v100
	global_wb scope:SCOPE_SE
	s_wait_storecnt 0x0
	s_wait_loadcnt_dscnt 0x0
	s_barrier_signal -1
	s_barrier_wait -1
	global_inv scope:SCOPE_SE
	v_mul_f32_e32 v47, v20, v112
	v_mul_f32_e32 v46, v21, v112
	v_dual_mul_f32 v51, v34, v108 :: v_dual_and_b32 v38, 0xffff, v38
	v_mul_f32_e32 v49, v22, v110
	s_delay_alu instid0(VALU_DEP_4) | instskip(SKIP_1) | instid1(VALU_DEP_4)
	v_fmac_f32_e32 v47, v21, v111
	v_sub_f32_e32 v21, v1, v39
	v_fmac_f32_e32 v51, v35, v107
	v_lshl_add_u32 v56, v38, 3, v145
	v_mul_f32_e32 v38, v29, v102
	v_lshl_add_u32 v52, v42, 3, v145
	v_dual_mul_f32 v42, v25, v116 :: v_dual_fmac_f32 v49, v23, v109
	v_lshl_add_u32 v59, v36, 3, v145
	s_delay_alu instid0(VALU_DEP_4) | instskip(SKIP_1) | instid1(VALU_DEP_4)
	v_fma_f32 v28, v28, v101, -v38
	v_and_b32_e32 v41, 0xffff, v41
	v_fma_f32 v24, v24, v115, -v42
	v_mul_f32_e32 v36, v17, v106
	v_mul_f32_e32 v48, v23, v110
	;; [unrolled: 1-line block ×3, first 2 shown]
	v_mul_u32_u24_e32 v41, 34, v41
	v_sub_f32_e32 v24, v12, v24
	v_fma_f32 v29, v30, v99, -v40
	v_sub_f32_e32 v25, v13, v43
	v_fma_f32 v34, v34, v107, -v50
	v_add_nc_u32_e32 v37, v41, v37
	v_dual_mul_f32 v44, v27, v114 :: v_dual_and_b32 v41, 0xffff, v44
	v_dual_sub_f32 v27, v15, v45 :: v_dual_sub_f32 v136, v33, v51
	s_delay_alu instid0(VALU_DEP_3) | instskip(SKIP_1) | instid1(VALU_DEP_4)
	v_lshl_add_u32 v58, v37, 3, v145
	v_mul_f32_e32 v37, v16, v106
	v_fma_f32 v26, v26, v113, -v44
	v_fma_f32 v16, v16, v105, -v36
	v_dual_mul_f32 v36, v18, v104 :: v_dual_sub_f32 v135, v32, v34
	s_delay_alu instid0(VALU_DEP_4) | instskip(NEXT) | instid1(VALU_DEP_4)
	v_fmac_f32_e32 v37, v17, v105
	v_dual_mul_f32 v17, v19, v104 :: v_dual_sub_f32 v26, v14, v26
	v_lshl_add_u32 v53, v41, 3, v145
	s_delay_alu instid0(VALU_DEP_4) | instskip(NEXT) | instid1(VALU_DEP_3)
	v_dual_mul_f32 v41, v30, v100 :: v_dual_fmac_f32 v36, v19, v103
	v_fma_f32 v18, v18, v103, -v17
	v_fma_f32 v30, v20, v111, -v46
	s_delay_alu instid0(VALU_DEP_3) | instskip(SKIP_1) | instid1(VALU_DEP_4)
	v_dual_sub_f32 v16, v4, v16 :: v_dual_fmac_f32 v41, v31, v99
	v_fma_f32 v31, v22, v109, -v48
	v_dual_sub_f32 v17, v5, v37 :: v_dual_sub_f32 v18, v6, v18
	v_sub_f32_e32 v19, v7, v36
	v_sub_f32_e32 v20, v0, v28
	;; [unrolled: 1-line block ×3, first 2 shown]
	v_dual_sub_f32 v23, v3, v41 :: v_dual_sub_f32 v28, v8, v30
	v_sub_f32_e32 v29, v9, v47
	v_dual_sub_f32 v30, v10, v31 :: v_dual_sub_f32 v31, v11, v49
	v_fma_f32 v4, v4, 2.0, -v16
	v_fma_f32 v5, v5, 2.0, -v17
	;; [unrolled: 1-line block ×16, first 2 shown]
	s_clause 0x1
	scratch_store_b32 off, v57, off offset:84
	scratch_store_b32 off, v58, off offset:88
	ds_store_2addr_b64 v57, v[4:5], v[16:17] offset1:17
	scratch_store_b32 off, v59, off offset:92 ; 4-byte Folded Spill
	ds_store_2addr_b64 v59, v[6:7], v[18:19] offset1:17
	ds_store_2addr_b64 v58, v[0:1], v[20:21] offset1:17
	s_clause 0x4
	scratch_store_b32 off, v56, off offset:80
	scratch_store_b32 off, v55, off offset:76
	;; [unrolled: 1-line block ×5, first 2 shown]
	ds_store_2addr_b64 v56, v[2:3], v[22:23] offset1:17
	ds_store_2addr_b64 v55, v[12:13], v[24:25] offset1:17
	;; [unrolled: 1-line block ×5, first 2 shown]
	s_and_saveexec_b32 s0, vcc_lo
	s_cbranch_execz .LBB0_5
; %bb.4:
	s_clause 0x1
	scratch_load_b32 v0, off, off offset:56
	scratch_load_b32 v1, off, off offset:60
	s_wait_loadcnt 0x0
	v_mad_u16 v0, v0, 34, v1
	v_fma_f32 v1, v33, 2.0, -v136
	s_delay_alu instid0(VALU_DEP_2) | instskip(SKIP_1) | instid1(VALU_DEP_2)
	v_and_b32_e32 v2, 0xffff, v0
	v_fma_f32 v0, v32, 2.0, -v135
	v_lshl_add_u32 v2, v2, 3, v145
	ds_store_2addr_b64 v2, v[0:1], v[135:136] offset1:17
.LBB0_5:
	s_wait_alu 0xfffe
	s_or_b32 exec_lo, exec_lo, s0
	v_add_co_u32 v137, s0, 0xffffffde, v143
	s_wait_alu 0xf1ff
	v_add_co_ci_u32_e64 v138, null, 0, -1, s0
	global_wb scope:SCOPE_SE
	s_wait_storecnt_dscnt 0x0
	v_cndmask_b32_e32 v32, v137, v143, vcc_lo
	s_barrier_signal -1
	v_cndmask_b32_e64 v33, v138, 0, vcc_lo
	s_barrier_wait -1
	global_inv scope:SCOPE_SE
	v_add_nc_u32_e32 v36, 0x1000, v144
	v_add_nc_u32_e32 v37, 0x1800, v144
	v_lshlrev_b64_e32 v[0:1], 7, v[32:33]
	s_delay_alu instid0(VALU_DEP_1) | instskip(SKIP_1) | instid1(VALU_DEP_2)
	v_add_co_u32 v33, s0, s10, v0
	s_wait_alu 0xf1ff
	v_add_co_ci_u32_e64 v34, s0, s11, v1, s0
	s_clause 0x3
	global_load_b128 v[0:3], v[33:34], off offset:136
	global_load_b128 v[28:31], v[33:34], off offset:152
	;; [unrolled: 1-line block ×4, first 2 shown]
	v_add_nc_u32_e32 v160, 0x800, v144
	ds_load_2addr_b64 v[8:11], v144 offset0:136 offset1:204
	ds_load_2addr_b64 v[12:15], v160 offset0:16 offset1:84
	;; [unrolled: 1-line block ×3, first 2 shown]
	v_cmp_lt_u16_e64 s0, 33, v143
	s_wait_loadcnt_dscnt 0x202
	v_dual_mul_f32 v38, v8, v3 :: v_dual_mul_f32 v21, v11, v29
	s_wait_loadcnt_dscnt 0x101
	v_mul_f32_e32 v41, v14, v25
	v_dual_mul_f32 v39, v10, v29 :: v_dual_mul_f32 v22, v13, v31
	s_wait_loadcnt_dscnt 0x0
	v_dual_fmac_f32 v38, v9, v2 :: v_dual_mul_f32 v47, v18, v5
	v_mul_f32_e32 v40, v12, v31
	s_delay_alu instid0(VALU_DEP_3)
	v_dual_mul_f32 v20, v9, v3 :: v_dual_fmac_f32 v39, v11, v28
	v_fma_f32 v43, v10, v28, -v21
	v_fmac_f32_e32 v41, v15, v24
	v_fma_f32 v45, v12, v30, -v22
	v_dual_fmac_f32 v47, v19, v4 :: v_dual_fmac_f32 v40, v13, v30
	ds_load_2addr_b64 v[10:13], v36 offset0:32 offset1:100
	v_fma_f32 v42, v8, v2, -v20
	v_dual_mul_f32 v8, v15, v25 :: v_dual_mul_f32 v9, v17, v27
	s_delay_alu instid0(VALU_DEP_1) | instskip(SKIP_1) | instid1(VALU_DEP_3)
	v_fma_f32 v46, v14, v24, -v8
	v_mul_f32_e32 v8, v19, v5
	v_fma_f32 v48, v16, v26, -v9
	s_delay_alu instid0(VALU_DEP_2) | instskip(SKIP_4) | instid1(VALU_DEP_3)
	v_fma_f32 v49, v18, v4, -v8
	s_wait_dscnt 0x0
	v_mul_f32_e32 v8, v11, v7
	v_mul_f32_e32 v51, v10, v7
	;; [unrolled: 1-line block ×3, first 2 shown]
	v_fma_f32 v50, v10, v6, -v8
	s_delay_alu instid0(VALU_DEP_3) | instskip(NEXT) | instid1(VALU_DEP_3)
	v_fmac_f32_e32 v51, v11, v6
	v_fmac_f32_e32 v44, v17, v26
	s_clause 0x1
	global_load_b128 v[16:19], v[33:34], off offset:200
	global_load_b128 v[8:11], v[33:34], off offset:216
	ds_load_2addr_b64 v[59:62], v37 offset0:48 offset1:116
	s_wait_loadcnt 0x1
	v_mul_f32_e32 v14, v13, v17
	v_mul_f32_e32 v53, v12, v17
	s_delay_alu instid0(VALU_DEP_2) | instskip(NEXT) | instid1(VALU_DEP_2)
	v_fma_f32 v52, v12, v16, -v14
	v_fmac_f32_e32 v53, v13, v16
	ds_load_2addr_b64 v[12:15], v36 offset0:168 offset1:236
	v_sub_f32_e32 v176, v50, v52
	s_delay_alu instid0(VALU_DEP_1) | instskip(SKIP_4) | instid1(VALU_DEP_2)
	v_mul_f32_e32 v196, 0x3f65296c, v176
	v_mul_f32_e32 v152, 0x3eb8f4ab, v176
	s_wait_loadcnt_dscnt 0x0
	v_dual_mul_f32 v20, v13, v19 :: v_dual_mul_f32 v57, v14, v9
	v_mul_f32_e32 v55, v12, v19
	v_fma_f32 v54, v12, v18, -v20
	s_delay_alu instid0(VALU_DEP_2) | instskip(NEXT) | instid1(VALU_DEP_4)
	v_dual_mul_f32 v12, v15, v9 :: v_dual_fmac_f32 v55, v13, v18
	v_fmac_f32_e32 v57, v15, v8
	s_delay_alu instid0(VALU_DEP_2) | instskip(SKIP_1) | instid1(VALU_DEP_3)
	v_fma_f32 v56, v14, v8, -v12
	v_mul_f32_e32 v12, v60, v11
	v_sub_f32_e32 v165, v44, v57
	s_delay_alu instid0(VALU_DEP_2)
	v_fma_f32 v58, v59, v10, -v12
	s_clause 0x1
	global_load_b128 v[20:23], v[33:34], off offset:232
	global_load_b128 v[12:15], v[33:34], off offset:248
	ds_load_2addr_b64 v[119:122], v37 offset0:184 offset1:252
	v_mul_f32_e32 v59, v59, v11
	v_dual_mul_f32 v183, 0x3f65296c, v165 :: v_dual_sub_f32 v164, v46, v58
	s_delay_alu instid0(VALU_DEP_1)
	v_dual_fmac_f32 v59, v60, v10 :: v_dual_mul_f32 v182, 0xbf4c4adb, v164
	v_mul_f32_e32 v222, 0xbf65296c, v164
	v_mul_f32_e32 v254, 0x3f06c442, v164
	s_wait_loadcnt 0x1
	v_dual_mul_f32 v72, 0x3f2c7751, v164 :: v_dual_mul_f32 v33, v62, v21
	s_wait_dscnt 0x0
	v_mul_f32_e32 v63, v119, v23
	s_delay_alu instid0(VALU_DEP_2) | instskip(SKIP_2) | instid1(VALU_DEP_2)
	v_fma_f32 v60, v61, v20, -v33
	v_mul_f32_e32 v61, v61, v21
	v_mul_f32_e32 v33, v120, v23
	v_fmac_f32_e32 v61, v62, v20
	s_delay_alu instid0(VALU_DEP_2) | instskip(SKIP_1) | instid1(VALU_DEP_1)
	v_fma_f32 v62, v119, v22, -v33
	s_wait_loadcnt 0x0
	v_dual_mul_f32 v33, v122, v13 :: v_dual_sub_f32 v142, v43, v62
	s_delay_alu instid0(VALU_DEP_1) | instskip(SKIP_2) | instid1(VALU_DEP_2)
	v_fma_f32 v119, v121, v12, -v33
	s_wait_alu 0xf1ff
	v_cndmask_b32_e64 v33, 0, 0x242, s0
	v_dual_mul_f32 v177, 0xbf06c442, v142 :: v_dual_sub_f32 v140, v42, v119
	s_delay_alu instid0(VALU_DEP_2)
	v_add_nc_u32_e32 v158, v32, v33
	ds_load_b64 v[32:33], v144 offset:8704
	v_mul_f32_e32 v218, 0x3f763a35, v142
	v_mul_f32_e32 v67, 0x3e3c28d5, v142
	v_mul_f32_e32 v170, 0x3eb8f4ab, v140
	v_lshl_add_u32 v158, v158, 3, v145
	v_mul_f32_e32 v200, 0x3f65296c, v140
	v_mul_f32_e32 v216, 0xbe3c28d5, v140
	;; [unrolled: 1-line block ×6, first 2 shown]
	s_wait_dscnt 0x0
	v_mul_f32_e32 v134, v32, v15
	v_mul_f32_e32 v34, v33, v15
	s_delay_alu instid0(VALU_DEP_2) | instskip(SKIP_1) | instid1(VALU_DEP_3)
	v_fmac_f32_e32 v134, v33, v14
	v_fmac_f32_e32 v63, v120, v22
	v_fma_f32 v133, v32, v14, -v34
	ds_load_2addr_b64 v[32:35], v144 offset1:68
	v_dual_mul_f32 v120, v121, v13 :: v_dual_sub_f32 v169, v47, v55
	v_sub_f32_e32 v141, v39, v63
	global_wb scope:SCOPE_SE
	s_wait_dscnt 0x0
	s_barrier_signal -1
	v_dual_fmac_f32 v120, v122, v12 :: v_dual_sub_f32 v159, v40, v61
	v_dual_mul_f32 v172, 0xbf06c442, v141 :: v_dual_sub_f32 v163, v41, v59
	s_delay_alu instid0(VALU_DEP_2) | instskip(NEXT) | instid1(VALU_DEP_3)
	v_dual_mul_f32 v190, 0xbf763a35, v169 :: v_dual_sub_f32 v139, v38, v120
	v_mul_f32_e32 v178, 0x3f2c7751, v159
	s_barrier_wait -1
	s_delay_alu instid0(VALU_DEP_3) | instskip(SKIP_3) | instid1(VALU_DEP_1)
	v_mul_f32_e32 v181, 0xbf4c4adb, v163
	global_inv scope:SCOPE_SE
	v_mul_f32_e32 v166, 0x3eb8f4ab, v139
	v_dual_mul_f32 v228, 0x3f2c7751, v176 :: v_dual_mul_f32 v179, v34, v1
	v_fmac_f32_e32 v179, v35, v0
	v_mul_f32_e32 v35, v35, v1
	s_delay_alu instid0(VALU_DEP_2) | instskip(NEXT) | instid1(VALU_DEP_2)
	v_sub_f32_e32 v186, v179, v134
	v_fma_f32 v185, v34, v0, -v35
	s_delay_alu instid0(VALU_DEP_1) | instskip(SKIP_2) | instid1(VALU_DEP_3)
	v_dual_mul_f32 v162, 0xbe3c28d5, v186 :: v_dual_add_f32 v187, v185, v133
	v_sub_f32_e32 v188, v185, v133
	v_add_f32_e32 v185, v32, v185
	v_fma_f32 v34, 0xbf7ba420, v187, -v162
	s_delay_alu instid0(VALU_DEP_3)
	v_mul_f32_e32 v168, 0xbe3c28d5, v188
	v_fmac_f32_e32 v162, 0xbf7ba420, v187
	v_mul_f32_e32 v199, 0xbf06c442, v188
	v_mul_f32_e32 v215, 0xbf7ee86f, v188
	v_dual_add_f32 v35, v32, v34 :: v_dual_add_f32 v34, v42, v119
	v_add_f32_e32 v189, v179, v134
	v_sub_f32_e32 v167, v48, v56
	v_dual_add_f32 v162, v32, v162 :: v_dual_mul_f32 v231, 0xbf763a35, v188
	s_delay_alu instid0(VALU_DEP_4) | instskip(SKIP_1) | instid1(VALU_DEP_4)
	v_fma_f32 v121, 0x3f6eb680, v34, -v166
	v_dual_fmac_f32 v166, 0x3f6eb680, v34 :: v_dual_sub_f32 v161, v45, v60
	v_mul_f32_e32 v184, 0x3f65296c, v167
	v_mul_f32_e32 v224, 0xbf06c442, v167
	s_delay_alu instid0(VALU_DEP_4) | instskip(SKIP_4) | instid1(VALU_DEP_4)
	v_add_f32_e32 v122, v121, v35
	v_fmamk_f32 v35, v189, 0xbf7ba420, v168
	v_mul_f32_e32 v180, 0x3f2c7751, v161
	v_add_f32_e32 v162, v166, v162
	v_fma_f32 v166, 0xbf7ba420, v189, -v168
	v_dual_mul_f32 v220, 0x3eb8f4ab, v161 :: v_dual_add_f32 v121, v33, v35
	v_dual_add_f32 v35, v38, v120 :: v_dual_mul_f32 v252, 0xbe3c28d5, v161
	s_delay_alu instid0(VALU_DEP_3) | instskip(SKIP_1) | instid1(VALU_DEP_3)
	v_dual_add_f32 v166, v33, v166 :: v_dual_mul_f32 v247, 0xbf2c7751, v188
	v_dual_mul_f32 v147, 0x3f763a35, v167 :: v_dual_mul_f32 v70, 0x3f763a35, v161
	v_fmamk_f32 v123, v35, 0x3f6eb680, v170
	v_fma_f32 v168, 0x3f6eb680, v35, -v170
	v_fma_f32 v201, 0x3ee437d1, v35, -v200
	;; [unrolled: 1-line block ×4, first 2 shown]
	v_add_f32_e32 v123, v123, v121
	v_add_f32_e32 v121, v43, v62
	v_dual_add_f32 v166, v168, v166 :: v_dual_mul_f32 v155, 0xbf65296c, v188
	v_mul_f32_e32 v74, 0xbeb8f4ab, v167
	v_add_f32_e32 v179, v33, v179
	s_delay_alu instid0(VALU_DEP_4) | instskip(SKIP_1) | instid1(VALU_DEP_2)
	v_fma_f32 v124, 0xbf59a7d5, v121, -v172
	v_fmac_f32_e32 v172, 0xbf59a7d5, v121
	v_add_f32_e32 v124, v124, v122
	v_add_f32_e32 v122, v39, v63
	s_delay_alu instid0(VALU_DEP_1) | instskip(SKIP_2) | instid1(VALU_DEP_3)
	v_dual_add_f32 v162, v172, v162 :: v_dual_fmamk_f32 v125, v122, 0xbf59a7d5, v177
	v_fma_f32 v168, 0xbf59a7d5, v122, -v177
	v_fma_f32 v68, 0xbf7ba420, v122, -v67
	v_add_f32_e32 v125, v125, v123
	s_delay_alu instid0(VALU_DEP_3) | instskip(NEXT) | instid1(VALU_DEP_1)
	v_dual_add_f32 v123, v45, v60 :: v_dual_add_f32 v166, v168, v166
	v_fma_f32 v126, 0x3f3d2fb0, v123, -v178
	s_delay_alu instid0(VALU_DEP_1) | instskip(SKIP_1) | instid1(VALU_DEP_1)
	v_add_f32_e32 v126, v126, v124
	v_add_f32_e32 v124, v40, v61
	v_fmamk_f32 v127, v124, 0x3f3d2fb0, v180
	v_fma_f32 v168, 0x3f3d2fb0, v124, -v180
	s_delay_alu instid0(VALU_DEP_2) | instskip(SKIP_1) | instid1(VALU_DEP_3)
	v_dual_mul_f32 v180, 0x3f7ee86f, v163 :: v_dual_add_f32 v127, v127, v125
	v_add_f32_e32 v125, v46, v58
	v_add_f32_e32 v166, v168, v166
	s_delay_alu instid0(VALU_DEP_2) | instskip(NEXT) | instid1(VALU_DEP_1)
	v_fma_f32 v128, 0xbf1a4643, v125, -v181
	v_add_f32_e32 v128, v128, v126
	v_add_f32_e32 v126, v41, v59
	s_delay_alu instid0(VALU_DEP_1) | instskip(SKIP_1) | instid1(VALU_DEP_2)
	v_fmamk_f32 v129, v126, 0xbf1a4643, v182
	v_fma_f32 v168, 0xbf1a4643, v126, -v182
	v_add_f32_e32 v129, v129, v127
	v_add_f32_e32 v127, v48, v56
	s_delay_alu instid0(VALU_DEP_3) | instskip(NEXT) | instid1(VALU_DEP_2)
	v_add_f32_e32 v166, v168, v166
	v_fma_f32 v130, 0x3ee437d1, v127, -v183
	s_delay_alu instid0(VALU_DEP_1) | instskip(SKIP_3) | instid1(VALU_DEP_3)
	v_add_f32_e32 v130, v130, v128
	v_dual_add_f32 v128, v44, v57 :: v_dual_sub_f32 v171, v49, v54
	v_fmac_f32_e32 v178, 0x3f3d2fb0, v123
	v_mul_f32_e32 v193, 0x3f7ee86f, v176
	v_fmamk_f32 v131, v128, 0x3ee437d1, v184
	s_delay_alu instid0(VALU_DEP_4) | instskip(SKIP_2) | instid1(VALU_DEP_4)
	v_mul_f32_e32 v191, 0xbf763a35, v171
	v_fma_f32 v168, 0x3ee437d1, v128, -v184
	v_dual_add_f32 v162, v178, v162 :: v_dual_fmac_f32 v183, 0x3ee437d1, v127
	v_add_f32_e32 v131, v131, v129
	v_add_f32_e32 v129, v49, v54
	s_delay_alu instid0(VALU_DEP_4) | instskip(SKIP_4) | instid1(VALU_DEP_4)
	v_add_f32_e32 v166, v168, v166
	v_mul_f32_e32 v184, 0x3f65296c, v139
	v_mul_f32_e32 v226, 0x3f4c4adb, v171
	;; [unrolled: 1-line block ×3, first 2 shown]
	v_fma_f32 v132, 0xbe8c1d8e, v129, -v190
	v_fma_f32 v198, 0x3ee437d1, v34, -v184
	v_fmac_f32_e32 v184, 0x3ee437d1, v34
	s_delay_alu instid0(VALU_DEP_3) | instskip(SKIP_1) | instid1(VALU_DEP_1)
	v_add_f32_e32 v132, v132, v130
	v_dual_add_f32 v130, v47, v55 :: v_dual_fmac_f32 v181, 0xbf1a4643, v125
	v_fmamk_f32 v173, v130, 0xbe8c1d8e, v191
	v_fma_f32 v168, 0xbe8c1d8e, v130, -v191
	s_delay_alu instid0(VALU_DEP_3) | instskip(NEXT) | instid1(VALU_DEP_3)
	v_add_f32_e32 v162, v181, v162
	v_add_f32_e32 v175, v173, v131
	v_sub_f32_e32 v173, v51, v53
	s_delay_alu instid0(VALU_DEP_4) | instskip(NEXT) | instid1(VALU_DEP_4)
	v_dual_add_f32 v131, v50, v52 :: v_dual_add_f32 v166, v168, v166
	v_add_f32_e32 v162, v183, v162
	s_delay_alu instid0(VALU_DEP_3) | instskip(NEXT) | instid1(VALU_DEP_1)
	v_mul_f32_e32 v192, 0x3f7ee86f, v173
	v_fma_f32 v174, 0x3dbcf732, v131, -v192
	v_fmac_f32_e32 v192, 0x3dbcf732, v131
	v_fmac_f32_e32 v190, 0xbe8c1d8e, v129
	s_delay_alu instid0(VALU_DEP_3) | instskip(SKIP_1) | instid1(VALU_DEP_3)
	v_add_f32_e32 v174, v174, v132
	v_add_f32_e32 v132, v51, v53
	;; [unrolled: 1-line block ×3, first 2 shown]
	v_add_nc_u32_e32 v190, 0x800, v158
	v_mul_f32_e32 v182, 0xbf2c7751, v165
	s_delay_alu instid0(VALU_DEP_4) | instskip(SKIP_2) | instid1(VALU_DEP_2)
	v_fmamk_f32 v194, v132, 0x3dbcf732, v193
	v_fma_f32 v168, 0x3dbcf732, v132, -v193
	v_dual_add_f32 v177, v192, v162 :: v_dual_mul_f32 v192, 0xbf4c4adb, v188
	v_dual_add_f32 v175, v194, v175 :: v_dual_add_f32 v178, v168, v166
	v_mul_f32_e32 v166, 0xbf4c4adb, v186
	v_mul_f32_e32 v168, 0x3f763a35, v139
	;; [unrolled: 1-line block ×3, first 2 shown]
	ds_store_2addr_b64 v190, v[174:175], v[177:178] offset0:16 offset1:50
	v_fma_f32 v191, 0xbf1a4643, v187, -v166
	v_fmac_f32_e32 v166, 0xbf1a4643, v187
	v_fma_f32 v162, 0xbe8c1d8e, v34, -v168
	v_fmac_f32_e32 v168, 0xbe8c1d8e, v34
	v_mul_f32_e32 v174, 0xbeb8f4ab, v141
	s_delay_alu instid0(VALU_DEP_4) | instskip(SKIP_1) | instid1(VALU_DEP_2)
	v_dual_mul_f32 v177, 0xbf06c442, v159 :: v_dual_add_f32 v166, v32, v166
	v_add_f32_e32 v191, v32, v191
	v_add_f32_e32 v170, v168, v166
	v_fma_f32 v166, 0xbf1a4643, v189, -v192
	s_delay_alu instid0(VALU_DEP_1) | instskip(SKIP_1) | instid1(VALU_DEP_1)
	v_add_f32_e32 v168, v33, v166
	v_mul_f32_e32 v166, 0x3f763a35, v140
	v_fma_f32 v172, 0xbe8c1d8e, v35, -v166
	s_delay_alu instid0(VALU_DEP_1) | instskip(SKIP_2) | instid1(VALU_DEP_1)
	v_add_f32_e32 v172, v172, v168
	v_fma_f32 v168, 0x3f6eb680, v121, -v174
	v_fmac_f32_e32 v174, 0x3f6eb680, v121
	v_add_f32_e32 v174, v174, v170
	v_mul_f32_e32 v170, 0xbeb8f4ab, v142
	s_delay_alu instid0(VALU_DEP_1) | instskip(NEXT) | instid1(VALU_DEP_1)
	v_fma_f32 v175, 0x3f6eb680, v122, -v170
	v_add_f32_e32 v175, v175, v172
	v_fma_f32 v172, 0xbf59a7d5, v123, -v177
	v_fmac_f32_e32 v177, 0xbf59a7d5, v123
	s_delay_alu instid0(VALU_DEP_1) | instskip(NEXT) | instid1(VALU_DEP_1)
	v_dual_add_f32 v177, v177, v174 :: v_dual_mul_f32 v174, 0xbf06c442, v161
	v_fma_f32 v178, 0xbf59a7d5, v124, -v174
	s_delay_alu instid0(VALU_DEP_1) | instskip(SKIP_2) | instid1(VALU_DEP_1)
	v_add_f32_e32 v178, v178, v175
	v_fma_f32 v175, 0x3dbcf732, v125, -v180
	v_fmac_f32_e32 v180, 0x3dbcf732, v125
	v_dual_add_f32 v180, v180, v177 :: v_dual_mul_f32 v177, 0x3f7ee86f, v164
	s_delay_alu instid0(VALU_DEP_1) | instskip(NEXT) | instid1(VALU_DEP_1)
	v_fma_f32 v181, 0x3dbcf732, v126, -v177
	v_add_f32_e32 v181, v181, v178
	v_fma_f32 v178, 0x3f3d2fb0, v127, -v182
	v_fmac_f32_e32 v182, 0x3f3d2fb0, v127
	s_delay_alu instid0(VALU_DEP_1) | instskip(SKIP_1) | instid1(VALU_DEP_1)
	v_add_f32_e32 v182, v182, v180
	v_mul_f32_e32 v180, 0xbf2c7751, v167
	v_fma_f32 v183, 0x3f3d2fb0, v128, -v180
	s_delay_alu instid0(VALU_DEP_1) | instskip(SKIP_1) | instid1(VALU_DEP_1)
	v_add_f32_e32 v181, v183, v181
	v_mul_f32_e32 v183, 0xbe3c28d5, v169
	v_fma_f32 v193, 0xbf7ba420, v129, -v183
	v_fmac_f32_e32 v183, 0xbf7ba420, v129
	s_delay_alu instid0(VALU_DEP_1) | instskip(SKIP_1) | instid1(VALU_DEP_1)
	v_add_f32_e32 v182, v183, v182
	v_fma_f32 v183, 0xbf7ba420, v130, -v194
	v_add_f32_e32 v183, v183, v181
	v_mul_f32_e32 v181, 0x3f65296c, v173
	s_delay_alu instid0(VALU_DEP_1) | instskip(SKIP_1) | instid1(VALU_DEP_1)
	v_fma_f32 v195, 0x3ee437d1, v131, -v181
	v_fmac_f32_e32 v181, 0x3ee437d1, v131
	v_add_f32_e32 v181, v181, v182
	v_fma_f32 v182, 0x3ee437d1, v132, -v196
	s_delay_alu instid0(VALU_DEP_1) | instskip(NEXT) | instid1(VALU_DEP_1)
	v_dual_add_f32 v182, v182, v183 :: v_dual_mul_f32 v183, 0xbf06c442, v186
	v_fma_f32 v197, 0xbf59a7d5, v187, -v183
	v_fmac_f32_e32 v183, 0xbf59a7d5, v187
	s_delay_alu instid0(VALU_DEP_1) | instskip(NEXT) | instid1(VALU_DEP_1)
	v_add_f32_e32 v183, v32, v183
	v_add_f32_e32 v183, v184, v183
	v_fma_f32 v184, 0xbf59a7d5, v189, -v199
	s_delay_alu instid0(VALU_DEP_1) | instskip(NEXT) | instid1(VALU_DEP_1)
	v_add_f32_e32 v184, v33, v184
	v_dual_add_f32 v184, v201, v184 :: v_dual_mul_f32 v201, 0xbf7ee86f, v141
	s_delay_alu instid0(VALU_DEP_1) | instskip(SKIP_1) | instid1(VALU_DEP_1)
	v_fma_f32 v202, 0x3dbcf732, v121, -v201
	v_fmac_f32_e32 v201, 0x3dbcf732, v121
	v_add_f32_e32 v183, v201, v183
	v_mul_f32_e32 v201, 0xbf7ee86f, v142
	s_delay_alu instid0(VALU_DEP_1) | instskip(NEXT) | instid1(VALU_DEP_1)
	v_fma_f32 v203, 0x3dbcf732, v122, -v201
	v_dual_add_f32 v184, v203, v184 :: v_dual_mul_f32 v203, 0x3f4c4adb, v159
	s_delay_alu instid0(VALU_DEP_1) | instskip(SKIP_1) | instid1(VALU_DEP_1)
	v_fma_f32 v204, 0xbf1a4643, v123, -v203
	v_fmac_f32_e32 v203, 0xbf1a4643, v123
	v_add_f32_e32 v183, v203, v183
	v_mul_f32_e32 v203, 0x3f4c4adb, v161
	s_delay_alu instid0(VALU_DEP_1) | instskip(NEXT) | instid1(VALU_DEP_1)
	v_fma_f32 v205, 0xbf1a4643, v124, -v203
	;; [unrolled: 8-line block ×6, first 2 shown]
	v_add_f32_e32 v184, v213, v184
	ds_store_2addr_b64 v190, v[183:184], v[181:182] offset0:84 offset1:118
	v_mul_f32_e32 v181, 0xbf7ee86f, v186
	v_mul_f32_e32 v182, 0xbe3c28d5, v139
	v_fma_f32 v183, 0xbf7ba420, v35, -v216
	v_mul_f32_e32 v184, 0x3f06c442, v139
	s_delay_alu instid0(VALU_DEP_4) | instskip(SKIP_4) | instid1(VALU_DEP_4)
	v_fma_f32 v213, 0x3dbcf732, v187, -v181
	v_fmac_f32_e32 v181, 0x3dbcf732, v187
	v_fma_f32 v214, 0xbf7ba420, v34, -v182
	v_fmac_f32_e32 v182, 0xbf7ba420, v34
	v_fma_f32 v230, 0xbf59a7d5, v34, -v184
	v_dual_fmac_f32 v184, 0xbf59a7d5, v34 :: v_dual_add_f32 v181, v32, v181
	s_delay_alu instid0(VALU_DEP_1) | instskip(SKIP_1) | instid1(VALU_DEP_1)
	v_add_f32_e32 v181, v182, v181
	v_fma_f32 v182, 0x3dbcf732, v189, -v215
	v_add_f32_e32 v182, v33, v182
	s_delay_alu instid0(VALU_DEP_1) | instskip(NEXT) | instid1(VALU_DEP_1)
	v_dual_add_f32 v182, v183, v182 :: v_dual_mul_f32 v183, 0x3f763a35, v141
	v_fma_f32 v217, 0xbe8c1d8e, v121, -v183
	v_fmac_f32_e32 v183, 0xbe8c1d8e, v121
	s_delay_alu instid0(VALU_DEP_1) | instskip(SKIP_1) | instid1(VALU_DEP_1)
	v_add_f32_e32 v181, v183, v181
	v_fma_f32 v183, 0xbe8c1d8e, v122, -v218
	v_dual_add_f32 v182, v183, v182 :: v_dual_mul_f32 v183, 0x3eb8f4ab, v159
	s_delay_alu instid0(VALU_DEP_1) | instskip(SKIP_1) | instid1(VALU_DEP_1)
	v_fma_f32 v219, 0x3f6eb680, v123, -v183
	v_fmac_f32_e32 v183, 0x3f6eb680, v123
	v_add_f32_e32 v181, v183, v181
	v_fma_f32 v183, 0x3f6eb680, v124, -v220
	s_delay_alu instid0(VALU_DEP_1) | instskip(NEXT) | instid1(VALU_DEP_1)
	v_dual_add_f32 v182, v183, v182 :: v_dual_mul_f32 v183, 0xbf65296c, v163
	v_fma_f32 v221, 0x3ee437d1, v125, -v183
	v_fmac_f32_e32 v183, 0x3ee437d1, v125
	s_delay_alu instid0(VALU_DEP_1) | instskip(SKIP_1) | instid1(VALU_DEP_1)
	v_add_f32_e32 v181, v183, v181
	v_fma_f32 v183, 0x3ee437d1, v126, -v222
	v_dual_add_f32 v182, v183, v182 :: v_dual_mul_f32 v183, 0xbf06c442, v165
	s_delay_alu instid0(VALU_DEP_1) | instskip(SKIP_1) | instid1(VALU_DEP_1)
	v_fma_f32 v223, 0xbf59a7d5, v127, -v183
	v_fmac_f32_e32 v183, 0xbf59a7d5, v127
	v_add_f32_e32 v181, v183, v181
	v_fma_f32 v183, 0xbf59a7d5, v128, -v224
	;; [unrolled: 13-line block ×3, first 2 shown]
	s_delay_alu instid0(VALU_DEP_1) | instskip(SKIP_1) | instid1(VALU_DEP_1)
	v_add_f32_e32 v182, v183, v182
	v_mul_f32_e32 v183, 0xbf763a35, v186
	v_fma_f32 v229, 0xbe8c1d8e, v187, -v183
	v_fmac_f32_e32 v183, 0xbe8c1d8e, v187
	s_delay_alu instid0(VALU_DEP_1) | instskip(NEXT) | instid1(VALU_DEP_1)
	v_add_f32_e32 v183, v32, v183
	v_add_f32_e32 v183, v184, v183
	v_fma_f32 v184, 0xbe8c1d8e, v189, -v231
	s_delay_alu instid0(VALU_DEP_1) | instskip(NEXT) | instid1(VALU_DEP_1)
	v_add_f32_e32 v184, v33, v184
	v_dual_add_f32 v184, v233, v184 :: v_dual_mul_f32 v233, 0x3f2c7751, v141
	s_delay_alu instid0(VALU_DEP_1) | instskip(SKIP_1) | instid1(VALU_DEP_1)
	v_fma_f32 v234, 0x3f3d2fb0, v121, -v233
	v_fmac_f32_e32 v233, 0x3f3d2fb0, v121
	v_add_f32_e32 v183, v233, v183
	v_mul_f32_e32 v233, 0x3f2c7751, v142
	s_delay_alu instid0(VALU_DEP_1) | instskip(NEXT) | instid1(VALU_DEP_1)
	v_fma_f32 v235, 0x3f3d2fb0, v122, -v233
	v_dual_add_f32 v184, v235, v184 :: v_dual_mul_f32 v235, 0xbf65296c, v159
	s_delay_alu instid0(VALU_DEP_1) | instskip(SKIP_1) | instid1(VALU_DEP_1)
	v_fma_f32 v236, 0x3ee437d1, v123, -v235
	v_fmac_f32_e32 v235, 0x3ee437d1, v123
	v_add_f32_e32 v183, v235, v183
	v_mul_f32_e32 v235, 0xbf65296c, v161
	s_delay_alu instid0(VALU_DEP_1) | instskip(NEXT) | instid1(VALU_DEP_1)
	v_fma_f32 v237, 0x3ee437d1, v124, -v235
	;; [unrolled: 8-line block ×6, first 2 shown]
	v_add_f32_e32 v184, v245, v184
	ds_store_2addr_b64 v190, v[183:184], v[181:182] offset0:152 offset1:186
	v_mul_f32_e32 v181, 0xbf2c7751, v186
	v_mul_f32_e32 v182, 0xbf7ee86f, v139
	v_fma_f32 v183, 0x3dbcf732, v35, -v248
	v_mul_f32_e32 v184, 0xbf4c4adb, v139
	s_delay_alu instid0(VALU_DEP_4) | instskip(SKIP_4) | instid1(VALU_DEP_4)
	v_fma_f32 v245, 0x3f3d2fb0, v187, -v181
	v_fmac_f32_e32 v181, 0x3f3d2fb0, v187
	v_fma_f32 v246, 0x3dbcf732, v34, -v182
	v_fmac_f32_e32 v182, 0x3dbcf732, v34
	v_fma_f32 v154, 0xbf1a4643, v34, -v184
	v_dual_fmac_f32 v184, 0xbf1a4643, v34 :: v_dual_add_f32 v181, v32, v181
	s_delay_alu instid0(VALU_DEP_1) | instskip(SKIP_1) | instid1(VALU_DEP_1)
	v_add_f32_e32 v181, v182, v181
	v_fma_f32 v182, 0x3f3d2fb0, v189, -v247
	v_add_f32_e32 v182, v33, v182
	s_delay_alu instid0(VALU_DEP_1) | instskip(NEXT) | instid1(VALU_DEP_1)
	v_dual_add_f32 v182, v183, v182 :: v_dual_mul_f32 v183, 0xbf4c4adb, v141
	v_fma_f32 v249, 0xbf1a4643, v121, -v183
	v_fmac_f32_e32 v183, 0xbf1a4643, v121
	s_delay_alu instid0(VALU_DEP_1) | instskip(SKIP_1) | instid1(VALU_DEP_1)
	v_add_f32_e32 v181, v183, v181
	v_fma_f32 v183, 0xbf1a4643, v122, -v250
	v_dual_add_f32 v182, v183, v182 :: v_dual_mul_f32 v183, 0xbe3c28d5, v159
	s_delay_alu instid0(VALU_DEP_1) | instskip(SKIP_1) | instid1(VALU_DEP_1)
	v_fma_f32 v251, 0xbf7ba420, v123, -v183
	v_fmac_f32_e32 v183, 0xbf7ba420, v123
	v_add_f32_e32 v181, v183, v181
	v_fma_f32 v183, 0xbf7ba420, v124, -v252
	s_delay_alu instid0(VALU_DEP_1) | instskip(NEXT) | instid1(VALU_DEP_1)
	v_dual_add_f32 v182, v183, v182 :: v_dual_mul_f32 v183, 0x3f06c442, v163
	v_fma_f32 v253, 0xbf59a7d5, v125, -v183
	v_fmac_f32_e32 v183, 0xbf59a7d5, v125
	s_delay_alu instid0(VALU_DEP_1) | instskip(SKIP_1) | instid1(VALU_DEP_1)
	v_add_f32_e32 v181, v183, v181
	v_fma_f32 v183, 0xbf59a7d5, v126, -v254
	v_dual_add_f32 v182, v183, v182 :: v_dual_mul_f32 v183, 0x3f763a35, v165
	s_delay_alu instid0(VALU_DEP_1) | instskip(SKIP_1) | instid1(VALU_DEP_1)
	v_fma_f32 v255, 0xbe8c1d8e, v127, -v183
	v_fmac_f32_e32 v183, 0xbe8c1d8e, v127
	v_add_f32_e32 v181, v183, v181
	v_fma_f32 v183, 0xbe8c1d8e, v128, -v147
	;; [unrolled: 13-line block ×3, first 2 shown]
	s_delay_alu instid0(VALU_DEP_1) | instskip(SKIP_1) | instid1(VALU_DEP_1)
	v_add_f32_e32 v182, v183, v182
	v_mul_f32_e32 v183, 0xbf65296c, v186
	v_fma_f32 v153, 0x3ee437d1, v187, -v183
	v_fmac_f32_e32 v183, 0x3ee437d1, v187
	s_delay_alu instid0(VALU_DEP_2) | instskip(NEXT) | instid1(VALU_DEP_2)
	v_dual_mul_f32 v76, 0xbf7ee86f, v171 :: v_dual_add_f32 v153, v32, v153
	v_add_f32_e32 v183, v32, v183
	s_delay_alu instid0(VALU_DEP_1) | instskip(SKIP_2) | instid1(VALU_DEP_2)
	v_add_f32_e32 v183, v184, v183
	v_fma_f32 v184, 0x3ee437d1, v189, -v155
	v_fmamk_f32 v155, v189, 0x3ee437d1, v155
	v_add_f32_e32 v184, v33, v184
	s_delay_alu instid0(VALU_DEP_1) | instskip(SKIP_1) | instid1(VALU_DEP_2)
	v_dual_add_f32 v155, v33, v155 :: v_dual_add_f32 v148, v148, v184
	v_mul_f32_e32 v184, 0x3e3c28d5, v141
	v_add_f32_e32 v68, v68, v148
	s_delay_alu instid0(VALU_DEP_2) | instskip(SKIP_2) | instid1(VALU_DEP_2)
	v_fma_f32 v65, 0xbf7ba420, v121, -v184
	v_fmac_f32_e32 v184, 0xbf7ba420, v121
	v_mul_f32_e32 v148, 0x3f763a35, v159
	v_add_f32_e32 v66, v184, v183
	s_delay_alu instid0(VALU_DEP_2) | instskip(SKIP_1) | instid1(VALU_DEP_1)
	v_fma_f32 v69, 0xbe8c1d8e, v123, -v148
	v_fmac_f32_e32 v148, 0xbe8c1d8e, v123
	v_add_f32_e32 v66, v148, v66
	v_fma_f32 v148, 0xbe8c1d8e, v124, -v70
	s_delay_alu instid0(VALU_DEP_1) | instskip(SKIP_1) | instid1(VALU_DEP_1)
	v_add_f32_e32 v68, v148, v68
	v_mul_f32_e32 v148, 0x3f2c7751, v163
	v_fma_f32 v71, 0x3f3d2fb0, v125, -v148
	v_fmac_f32_e32 v148, 0x3f3d2fb0, v125
	s_delay_alu instid0(VALU_DEP_1) | instskip(SKIP_1) | instid1(VALU_DEP_1)
	v_add_f32_e32 v66, v148, v66
	v_fma_f32 v148, 0x3f3d2fb0, v126, -v72
	v_add_f32_e32 v68, v148, v68
	v_mul_f32_e32 v148, 0xbeb8f4ab, v165
	s_delay_alu instid0(VALU_DEP_1) | instskip(SKIP_1) | instid1(VALU_DEP_1)
	v_fma_f32 v73, 0x3f6eb680, v127, -v148
	v_fmac_f32_e32 v148, 0x3f6eb680, v127
	v_add_f32_e32 v66, v148, v66
	v_fma_f32 v148, 0x3f6eb680, v128, -v74
	s_delay_alu instid0(VALU_DEP_1) | instskip(SKIP_1) | instid1(VALU_DEP_1)
	v_add_f32_e32 v68, v148, v68
	v_mul_f32_e32 v148, 0xbf7ee86f, v169
	v_fma_f32 v75, 0x3dbcf732, v129, -v148
	v_fmac_f32_e32 v148, 0x3dbcf732, v129
	s_delay_alu instid0(VALU_DEP_1) | instskip(SKIP_1) | instid1(VALU_DEP_1)
	v_add_f32_e32 v66, v148, v66
	v_fma_f32 v148, 0x3dbcf732, v130, -v76
	v_add_f32_e32 v68, v148, v68
	v_mul_f32_e32 v148, 0xbf06c442, v173
	s_delay_alu instid0(VALU_DEP_1) | instskip(SKIP_1) | instid1(VALU_DEP_1)
	v_fma_f32 v77, 0xbf59a7d5, v131, -v148
	v_fmac_f32_e32 v148, 0xbf59a7d5, v131
	v_dual_add_f32 v183, v148, v66 :: v_dual_mul_f32 v66, 0xbf06c442, v176
	v_mul_f32_e32 v148, 0xbeb8f4ab, v188
	v_add_f32_e32 v188, v32, v245
	s_delay_alu instid0(VALU_DEP_3) | instskip(NEXT) | instid1(VALU_DEP_1)
	v_fma_f32 v78, 0xbf59a7d5, v132, -v66
	v_add_f32_e32 v184, v78, v68
	ds_store_2addr_b64 v190, v[183:184], v[181:182] offset0:220 offset1:254
	v_fmamk_f32 v181, v189, 0x3f6eb680, v148
	v_fmamk_f32 v183, v189, 0x3dbcf732, v215
	v_mul_f32_e32 v68, 0xbeb8f4ab, v186
	v_fma_f32 v148, 0x3f6eb680, v189, -v148
	v_fmamk_f32 v184, v189, 0xbe8c1d8e, v231
	v_fmamk_f32 v186, v189, 0xbf1a4643, v192
	v_add_f32_e32 v181, v33, v181
	v_fmamk_f32 v182, v189, 0x3f3d2fb0, v247
	v_add_f32_e32 v183, v33, v183
	v_fma_f32 v78, 0x3f6eb680, v187, -v68
	v_fmac_f32_e32 v68, 0x3f6eb680, v187
	v_fmamk_f32 v187, v189, 0xbf59a7d5, v199
	v_add_f32_e32 v148, v33, v148
	v_add_f32_e32 v182, v33, v182
	;; [unrolled: 1-line block ×7, first 2 shown]
	v_dual_add_f32 v192, v32, v197 :: v_dual_add_f32 v187, v33, v187
	v_dual_add_f32 v33, v179, v38 :: v_dual_add_f32 v68, v32, v68
	v_add_f32_e32 v32, v185, v42
	v_mul_f32_e32 v42, 0xbf65296c, v141
	v_add_co_u32 v141, s0, s8, v157
	s_delay_alu instid0(VALU_DEP_3) | instskip(NEXT) | instid1(VALU_DEP_3)
	v_add_f32_e32 v32, v32, v43
	v_fma_f32 v43, 0x3ee437d1, v121, -v42
	s_delay_alu instid0(VALU_DEP_2) | instskip(NEXT) | instid1(VALU_DEP_1)
	v_add_f32_e32 v32, v32, v45
	v_add_f32_e32 v32, v32, v46
	s_delay_alu instid0(VALU_DEP_1) | instskip(NEXT) | instid1(VALU_DEP_1)
	v_add_f32_e32 v32, v32, v48
	v_dual_add_f32 v32, v32, v49 :: v_dual_add_f32 v33, v33, v39
	s_delay_alu instid0(VALU_DEP_1) | instskip(NEXT) | instid1(VALU_DEP_1)
	v_add_f32_e32 v32, v32, v50
	v_add_f32_e32 v32, v32, v52
	s_delay_alu instid0(VALU_DEP_3) | instskip(NEXT) | instid1(VALU_DEP_1)
	v_dual_add_f32 v33, v33, v40 :: v_dual_mul_f32 v40, 0xbf2c7751, v139
	v_dual_add_f32 v32, v32, v54 :: v_dual_add_f32 v33, v33, v41
	s_delay_alu instid0(VALU_DEP_2) | instskip(SKIP_1) | instid1(VALU_DEP_3)
	v_fma_f32 v38, 0x3f3d2fb0, v34, -v40
	v_fmac_f32_e32 v40, 0x3f3d2fb0, v34
	v_add_f32_e32 v32, v32, v56
	s_delay_alu instid0(VALU_DEP_3) | instskip(NEXT) | instid1(VALU_DEP_3)
	v_dual_add_f32 v33, v33, v44 :: v_dual_add_f32 v38, v38, v78
	v_add_f32_e32 v34, v40, v68
	s_delay_alu instid0(VALU_DEP_2) | instskip(NEXT) | instid1(VALU_DEP_3)
	v_dual_add_f32 v32, v32, v58 :: v_dual_add_f32 v33, v33, v47
	v_dual_add_f32 v38, v43, v38 :: v_dual_mul_f32 v41, 0xbf2c7751, v140
	s_delay_alu instid0(VALU_DEP_2) | instskip(NEXT) | instid1(VALU_DEP_3)
	v_dual_mul_f32 v43, 0xbf65296c, v142 :: v_dual_add_f32 v32, v32, v60
	v_dual_add_f32 v33, v33, v51 :: v_dual_fmac_f32 v42, 0x3ee437d1, v121
	s_delay_alu instid0(VALU_DEP_3) | instskip(NEXT) | instid1(VALU_DEP_3)
	v_fmamk_f32 v39, v35, 0x3f3d2fb0, v41
	v_fmamk_f32 v44, v122, 0x3ee437d1, v43
	s_delay_alu instid0(VALU_DEP_3) | instskip(SKIP_1) | instid1(VALU_DEP_4)
	v_dual_add_f32 v32, v32, v62 :: v_dual_add_f32 v33, v33, v53
	v_mul_f32_e32 v53, 0xbe3c28d5, v176
	v_dual_add_f32 v39, v39, v181 :: v_dual_add_f32 v34, v42, v34
	s_delay_alu instid0(VALU_DEP_3) | instskip(NEXT) | instid1(VALU_DEP_4)
	v_add_f32_e32 v32, v32, v119
	v_add_f32_e32 v33, v33, v55
	s_wait_alu 0xf1ff
	v_add_co_ci_u32_e64 v142, null, s9, 0, s0
	v_add_f32_e32 v39, v44, v39
	v_add_f32_e32 v32, v32, v133
	v_dual_add_f32 v33, v33, v57 :: v_dual_mul_f32 v44, 0xbf7ee86f, v159
	s_delay_alu instid0(VALU_DEP_1) | instskip(NEXT) | instid1(VALU_DEP_2)
	v_add_f32_e32 v33, v33, v59
	v_fma_f32 v45, 0x3dbcf732, v123, -v44
	s_delay_alu instid0(VALU_DEP_2) | instskip(NEXT) | instid1(VALU_DEP_2)
	v_dual_fmac_f32 v44, 0x3dbcf732, v123 :: v_dual_add_f32 v33, v33, v61
	v_dual_add_f32 v38, v45, v38 :: v_dual_mul_f32 v45, 0xbf7ee86f, v161
	v_add_nc_u32_e32 v161, 0x1c00, v144
	s_delay_alu instid0(VALU_DEP_2) | instskip(NEXT) | instid1(VALU_DEP_1)
	v_dual_add_f32 v33, v33, v63 :: v_dual_fmamk_f32 v46, v124, 0x3dbcf732, v45
	v_add_f32_e32 v33, v33, v120
	s_delay_alu instid0(VALU_DEP_2) | instskip(NEXT) | instid1(VALU_DEP_2)
	v_add_f32_e32 v39, v46, v39
	v_dual_mul_f32 v46, 0xbf763a35, v163 :: v_dual_add_f32 v33, v33, v134
	s_delay_alu instid0(VALU_DEP_1) | instskip(NEXT) | instid1(VALU_DEP_1)
	v_fma_f32 v47, 0xbe8c1d8e, v125, -v46
	v_dual_add_f32 v38, v47, v38 :: v_dual_mul_f32 v47, 0xbf763a35, v164
	v_fmac_f32_e32 v46, 0xbe8c1d8e, v125
	s_delay_alu instid0(VALU_DEP_2) | instskip(NEXT) | instid1(VALU_DEP_1)
	v_fmamk_f32 v48, v126, 0xbe8c1d8e, v47
	v_dual_add_f32 v39, v48, v39 :: v_dual_mul_f32 v48, 0xbf4c4adb, v165
	s_delay_alu instid0(VALU_DEP_1) | instskip(SKIP_1) | instid1(VALU_DEP_2)
	v_fma_f32 v49, 0xbf1a4643, v127, -v48
	v_fmac_f32_e32 v48, 0xbf1a4643, v127
	v_dual_add_f32 v38, v49, v38 :: v_dual_mul_f32 v49, 0xbf4c4adb, v167
	s_delay_alu instid0(VALU_DEP_1) | instskip(NEXT) | instid1(VALU_DEP_1)
	v_fmamk_f32 v50, v128, 0xbf1a4643, v49
	v_dual_add_f32 v39, v50, v39 :: v_dual_mul_f32 v50, 0xbf06c442, v169
	s_delay_alu instid0(VALU_DEP_1) | instskip(NEXT) | instid1(VALU_DEP_1)
	v_fma_f32 v51, 0xbf59a7d5, v129, -v50
	v_dual_add_f32 v38, v51, v38 :: v_dual_mul_f32 v51, 0xbf06c442, v171
	v_fmac_f32_e32 v50, 0xbf59a7d5, v129
	s_delay_alu instid0(VALU_DEP_2) | instskip(NEXT) | instid1(VALU_DEP_1)
	v_fmamk_f32 v52, v130, 0xbf59a7d5, v51
	v_dual_add_f32 v39, v52, v39 :: v_dual_mul_f32 v52, 0xbe3c28d5, v173
	s_delay_alu instid0(VALU_DEP_1) | instskip(SKIP_1) | instid1(VALU_DEP_2)
	v_fma_f32 v54, 0xbf7ba420, v131, -v52
	v_fmac_f32_e32 v52, 0xbf7ba420, v131
	v_add_f32_e32 v38, v54, v38
	v_fmamk_f32 v54, v132, 0xbf7ba420, v53
	s_delay_alu instid0(VALU_DEP_1) | instskip(SKIP_4) | instid1(VALU_DEP_2)
	v_add_f32_e32 v39, v54, v39
	v_fmamk_f32 v54, v122, 0xbf7ba420, v67
	ds_store_2addr_b64 v158, v[32:33], v[38:39] offset1:34
	v_dual_fmamk_f32 v33, v35, 0x3dbcf732, v248 :: v_dual_add_f32 v32, v246, v188
	v_fmamk_f32 v39, v35, 0xbf1a4643, v156
	v_dual_fmamk_f32 v38, v122, 0xbf1a4643, v250 :: v_dual_add_f32 v33, v33, v182
	s_delay_alu instid0(VALU_DEP_2) | instskip(NEXT) | instid1(VALU_DEP_2)
	v_add_f32_e32 v39, v39, v155
	v_dual_add_f32 v33, v38, v33 :: v_dual_fmamk_f32 v38, v124, 0xbf7ba420, v252
	s_delay_alu instid0(VALU_DEP_2) | instskip(NEXT) | instid1(VALU_DEP_2)
	v_dual_add_f32 v39, v54, v39 :: v_dual_add_f32 v32, v249, v32
	v_dual_fmamk_f32 v54, v124, 0xbe8c1d8e, v70 :: v_dual_add_f32 v33, v38, v33
	v_fmamk_f32 v38, v126, 0xbf59a7d5, v254
	s_delay_alu instid0(VALU_DEP_2) | instskip(SKIP_1) | instid1(VALU_DEP_3)
	v_dual_add_f32 v32, v251, v32 :: v_dual_add_f32 v39, v54, v39
	v_fmamk_f32 v54, v126, 0x3f3d2fb0, v72
	v_dual_add_f32 v33, v38, v33 :: v_dual_fmamk_f32 v38, v128, 0xbe8c1d8e, v147
	s_delay_alu instid0(VALU_DEP_2) | instskip(NEXT) | instid1(VALU_DEP_2)
	v_dual_add_f32 v32, v253, v32 :: v_dual_add_f32 v39, v54, v39
	v_dual_fmamk_f32 v54, v128, 0x3f6eb680, v74 :: v_dual_add_f32 v33, v38, v33
	v_fmamk_f32 v38, v130, 0x3ee437d1, v150
	s_delay_alu instid0(VALU_DEP_2) | instskip(SKIP_1) | instid1(VALU_DEP_3)
	v_dual_add_f32 v32, v255, v32 :: v_dual_add_f32 v39, v54, v39
	v_fmamk_f32 v54, v130, 0x3dbcf732, v76
	v_dual_add_f32 v33, v38, v33 :: v_dual_fmamk_f32 v38, v132, 0x3f6eb680, v152
	s_delay_alu instid0(VALU_DEP_2) | instskip(NEXT) | instid1(VALU_DEP_2)
	v_dual_add_f32 v32, v149, v32 :: v_dual_add_f32 v39, v54, v39
	v_dual_fmamk_f32 v54, v132, 0xbf59a7d5, v66 :: v_dual_add_f32 v33, v38, v33
	v_add_f32_e32 v38, v154, v153
	s_delay_alu instid0(VALU_DEP_2) | instskip(SKIP_1) | instid1(VALU_DEP_3)
	v_dual_add_f32 v32, v151, v32 :: v_dual_add_f32 v39, v54, v39
	v_fmamk_f32 v54, v122, 0x3f3d2fb0, v233
	v_add_f32_e32 v38, v65, v38
	s_delay_alu instid0(VALU_DEP_1) | instskip(NEXT) | instid1(VALU_DEP_1)
	v_add_f32_e32 v38, v69, v38
	v_add_f32_e32 v38, v71, v38
	s_delay_alu instid0(VALU_DEP_1) | instskip(NEXT) | instid1(VALU_DEP_1)
	v_add_f32_e32 v38, v73, v38
	v_add_f32_e32 v38, v75, v38
	s_delay_alu instid0(VALU_DEP_1) | instskip(SKIP_4) | instid1(VALU_DEP_3)
	v_add_f32_e32 v38, v77, v38
	ds_store_2addr_b64 v158, v[32:33], v[38:39] offset0:68 offset1:102
	v_fmamk_f32 v39, v35, 0xbf59a7d5, v232
	v_fmamk_f32 v33, v35, 0xbf7ba420, v216
	v_fmamk_f32 v38, v122, 0xbe8c1d8e, v218
	v_dual_add_f32 v32, v214, v189 :: v_dual_add_f32 v39, v39, v184
	s_delay_alu instid0(VALU_DEP_3) | instskip(NEXT) | instid1(VALU_DEP_2)
	v_add_f32_e32 v33, v33, v183
	v_dual_add_f32 v39, v54, v39 :: v_dual_fmamk_f32 v54, v124, 0x3ee437d1, v235
	s_delay_alu instid0(VALU_DEP_2) | instskip(NEXT) | instid1(VALU_DEP_2)
	v_add_f32_e32 v33, v38, v33
	v_add_f32_e32 v39, v54, v39
	v_fmamk_f32 v54, v126, 0xbf7ba420, v237
	s_delay_alu instid0(VALU_DEP_1) | instskip(NEXT) | instid1(VALU_DEP_1)
	v_dual_add_f32 v39, v54, v39 :: v_dual_fmamk_f32 v54, v128, 0x3dbcf732, v239
	v_dual_fmamk_f32 v38, v124, 0x3f6eb680, v220 :: v_dual_add_f32 v39, v54, v39
	s_delay_alu instid0(VALU_DEP_1) | instskip(SKIP_2) | instid1(VALU_DEP_2)
	v_add_f32_e32 v33, v38, v33
	v_fmamk_f32 v38, v126, 0x3ee437d1, v222
	v_fmamk_f32 v54, v130, 0x3f6eb680, v241
	v_dual_add_f32 v33, v38, v33 :: v_dual_fmamk_f32 v38, v128, 0xbf59a7d5, v224
	s_delay_alu instid0(VALU_DEP_2) | instskip(NEXT) | instid1(VALU_DEP_2)
	v_dual_add_f32 v32, v217, v32 :: v_dual_add_f32 v39, v54, v39
	v_dual_fmamk_f32 v54, v132, 0xbf1a4643, v243 :: v_dual_add_f32 v33, v38, v33
	v_fmamk_f32 v38, v130, 0xbf1a4643, v226
	s_delay_alu instid0(VALU_DEP_2) | instskip(SKIP_1) | instid1(VALU_DEP_3)
	v_dual_add_f32 v32, v219, v32 :: v_dual_add_f32 v39, v54, v39
	v_fmamk_f32 v54, v122, 0x3dbcf732, v201
	v_dual_add_f32 v33, v38, v33 :: v_dual_fmamk_f32 v38, v132, 0x3f3d2fb0, v228
	s_delay_alu instid0(VALU_DEP_1) | instskip(SKIP_1) | instid1(VALU_DEP_2)
	v_dual_add_f32 v32, v221, v32 :: v_dual_add_f32 v33, v38, v33
	v_add_f32_e32 v38, v230, v190
	v_add_f32_e32 v32, v223, v32
	s_delay_alu instid0(VALU_DEP_2) | instskip(NEXT) | instid1(VALU_DEP_2)
	v_add_f32_e32 v38, v234, v38
	v_add_f32_e32 v32, v225, v32
	s_delay_alu instid0(VALU_DEP_2) | instskip(NEXT) | instid1(VALU_DEP_2)
	v_add_f32_e32 v38, v236, v38
	v_add_f32_e32 v32, v227, v32
	s_delay_alu instid0(VALU_DEP_2) | instskip(NEXT) | instid1(VALU_DEP_1)
	v_add_f32_e32 v38, v238, v38
	v_add_f32_e32 v38, v240, v38
	s_delay_alu instid0(VALU_DEP_1) | instskip(NEXT) | instid1(VALU_DEP_1)
	v_add_f32_e32 v38, v242, v38
	v_add_f32_e32 v38, v244, v38
	ds_store_2addr_b64 v158, v[32:33], v[38:39] offset0:136 offset1:170
	v_fmamk_f32 v33, v35, 0xbe8c1d8e, v166
	v_fmamk_f32 v38, v122, 0x3f6eb680, v170
	v_dual_fmamk_f32 v39, v35, 0x3ee437d1, v200 :: v_dual_add_f32 v32, v162, v191
	s_delay_alu instid0(VALU_DEP_3) | instskip(NEXT) | instid1(VALU_DEP_2)
	v_add_f32_e32 v33, v33, v186
	v_add_f32_e32 v39, v39, v187
	s_delay_alu instid0(VALU_DEP_2) | instskip(NEXT) | instid1(VALU_DEP_2)
	v_dual_add_f32 v33, v38, v33 :: v_dual_fmamk_f32 v38, v124, 0xbf59a7d5, v174
	v_dual_add_f32 v39, v54, v39 :: v_dual_fmamk_f32 v54, v124, 0xbf1a4643, v203
	s_delay_alu instid0(VALU_DEP_2) | instskip(SKIP_1) | instid1(VALU_DEP_3)
	v_add_f32_e32 v33, v38, v33
	v_fmamk_f32 v38, v126, 0x3dbcf732, v177
	v_add_f32_e32 v39, v54, v39
	v_fmamk_f32 v54, v126, 0x3f6eb680, v205
	s_delay_alu instid0(VALU_DEP_3) | instskip(NEXT) | instid1(VALU_DEP_2)
	v_dual_add_f32 v33, v38, v33 :: v_dual_fmamk_f32 v38, v128, 0x3f3d2fb0, v180
	v_dual_add_f32 v39, v54, v39 :: v_dual_fmamk_f32 v54, v128, 0xbf7ba420, v207
	s_delay_alu instid0(VALU_DEP_2) | instskip(SKIP_1) | instid1(VALU_DEP_3)
	v_add_f32_e32 v33, v38, v33
	v_fmamk_f32 v38, v130, 0xbf7ba420, v194
	v_add_f32_e32 v39, v54, v39
	v_fmamk_f32 v54, v130, 0x3f3d2fb0, v209
	s_delay_alu instid0(VALU_DEP_3) | instskip(NEXT) | instid1(VALU_DEP_2)
	v_dual_add_f32 v33, v38, v33 :: v_dual_fmamk_f32 v38, v132, 0x3ee437d1, v196
	v_dual_add_f32 v32, v168, v32 :: v_dual_add_f32 v39, v54, v39
	s_delay_alu instid0(VALU_DEP_2) | instskip(SKIP_1) | instid1(VALU_DEP_2)
	v_dual_fmamk_f32 v54, v132, 0xbe8c1d8e, v211 :: v_dual_add_f32 v33, v38, v33
	v_add_f32_e32 v38, v198, v192
	v_dual_add_f32 v32, v172, v32 :: v_dual_add_f32 v39, v54, v39
	s_delay_alu instid0(VALU_DEP_2) | instskip(NEXT) | instid1(VALU_DEP_2)
	v_add_f32_e32 v38, v202, v38
	v_add_f32_e32 v32, v175, v32
	s_delay_alu instid0(VALU_DEP_2) | instskip(NEXT) | instid1(VALU_DEP_2)
	v_add_f32_e32 v38, v204, v38
	v_add_f32_e32 v32, v178, v32
	;; [unrolled: 3-line block ×4, first 2 shown]
	s_delay_alu instid0(VALU_DEP_2) | instskip(NEXT) | instid1(VALU_DEP_1)
	v_add_f32_e32 v38, v210, v38
	v_add_f32_e32 v38, v212, v38
	ds_store_2addr_b64 v158, v[32:33], v[38:39] offset0:204 offset1:238
	v_fma_f32 v32, 0x3f3d2fb0, v35, -v41
	v_fma_f32 v33, 0x3ee437d1, v122, -v43
	;; [unrolled: 1-line block ×3, first 2 shown]
	s_delay_alu instid0(VALU_DEP_3) | instskip(NEXT) | instid1(VALU_DEP_1)
	v_add_f32_e32 v32, v32, v148
	v_dual_add_f32 v32, v33, v32 :: v_dual_add_f32 v33, v44, v34
	v_fma_f32 v34, 0xbe8c1d8e, v126, -v47
	s_delay_alu instid0(VALU_DEP_2) | instskip(NEXT) | instid1(VALU_DEP_1)
	v_dual_add_f32 v32, v35, v32 :: v_dual_add_f32 v33, v46, v33
	v_add_f32_e32 v32, v34, v32
	v_fma_f32 v34, 0xbf1a4643, v128, -v49
	s_delay_alu instid0(VALU_DEP_1) | instskip(SKIP_1) | instid1(VALU_DEP_2)
	v_dual_add_f32 v33, v48, v33 :: v_dual_add_f32 v32, v34, v32
	v_fma_f32 v34, 0xbf59a7d5, v130, -v51
	v_add_f32_e32 v33, v50, v33
	s_delay_alu instid0(VALU_DEP_2) | instskip(SKIP_1) | instid1(VALU_DEP_1)
	v_add_f32_e32 v32, v34, v32
	v_fma_f32 v34, 0xbf7ba420, v132, -v53
	v_dual_add_f32 v139, v52, v33 :: v_dual_add_f32 v140, v34, v32
	v_add_nc_u32_e32 v32, 0x1400, v144
	ds_store_b64 v158, v[139:140] offset:4352
	global_wb scope:SCOPE_SE
	s_wait_dscnt 0x0
	s_barrier_signal -1
	s_barrier_wait -1
	global_inv scope:SCOPE_SE
	ds_load_2addr_b64 v[60:63], v36 offset0:66 offset1:134
	ds_load_2addr_b64 v[56:59], v32 offset0:74 offset1:142
	;; [unrolled: 1-line block ×3, first 2 shown]
	ds_load_2addr_b64 v[44:47], v144 offset1:68
	ds_load_2addr_b64 v[40:43], v144 offset0:136 offset1:204
	ds_load_2addr_b64 v[36:39], v160 offset0:16 offset1:84
	;; [unrolled: 1-line block ×4, first 2 shown]
	s_and_saveexec_b32 s0, vcc_lo
	s_cbranch_execz .LBB0_7
; %bb.6:
	ds_load_b64 v[139:140], v144 offset:4352
	ds_load_b64 v[135:136], v144 offset:8976
	v_dual_mov_b32 v138, v118 :: v_dual_mov_b32 v137, v117
.LBB0_7:
	s_wait_alu 0xfffe
	s_or_b32 exec_lo, exec_lo, s0
	s_delay_alu instid0(VALU_DEP_1)
	v_lshlrev_b64_e32 v[117:118], 3, v[137:138]
	s_clause 0x7
	global_load_b64 v[131:132], v157, s[10:11] offset:4488
	global_load_b64 v[127:128], v157, s[10:11] offset:5032
	global_load_b64 v[133:134], v157, s[10:11] offset:5576
	global_load_b64 v[121:122], v157, s[10:11] offset:6120
	global_load_b64 v[123:124], v157, s[10:11] offset:6664
	global_load_b64 v[129:130], v157, s[10:11] offset:7208
	global_load_b64 v[119:120], v157, s[10:11] offset:7752
	global_load_b64 v[125:126], v157, s[10:11] offset:8296
	v_lshl_add_u32 v159, v143, 3, v145
	v_add_co_u32 v117, s0, s10, v117
	s_wait_alu 0xf1ff
	v_add_co_ci_u32_e64 v118, s0, s11, v118, s0
	global_load_b64 v[117:118], v[117:118], off offset:4488
	s_wait_loadcnt_dscnt 0x807
	v_mul_f32_e32 v65, v61, v132
	s_wait_loadcnt_dscnt 0x606
	v_dual_mul_f32 v66, v60, v132 :: v_dual_mul_f32 v69, v57, v134
	s_wait_loadcnt 0x5
	v_dual_mul_f32 v67, v63, v128 :: v_dual_mul_f32 v72, v58, v122
	v_dual_mul_f32 v68, v62, v128 :: v_dual_mul_f32 v71, v59, v122
	s_wait_loadcnt_dscnt 0x405
	v_dual_mul_f32 v70, v56, v134 :: v_dual_mul_f32 v73, v49, v124
	s_wait_loadcnt 0x3
	v_mul_f32_e32 v76, v50, v130
	v_dual_mul_f32 v74, v48, v124 :: v_dual_mul_f32 v75, v51, v130
	v_fma_f32 v60, v60, v131, -v65
	v_fmac_f32_e32 v68, v63, v127
	v_fmac_f32_e32 v66, v61, v131
	v_fma_f32 v61, v62, v127, -v67
	s_wait_loadcnt_dscnt 0x100
	v_dual_mul_f32 v77, v53, v120 :: v_dual_mul_f32 v138, v54, v126
	v_dual_mul_f32 v78, v52, v120 :: v_dual_mul_f32 v137, v55, v126
	v_fmac_f32_e32 v72, v59, v121
	v_fmac_f32_e32 v70, v57, v133
	v_fma_f32 v57, v58, v121, -v71
	v_fma_f32 v58, v48, v123, -v73
	;; [unrolled: 1-line block ×3, first 2 shown]
	v_fmac_f32_e32 v76, v51, v129
	v_fmac_f32_e32 v74, v49, v123
	v_sub_f32_e32 v48, v44, v60
	s_wait_loadcnt 0x0
	v_dual_sub_f32 v50, v46, v61 :: v_dual_mul_f32 v65, v136, v118
	v_sub_f32_e32 v51, v47, v68
	v_sub_f32_e32 v49, v45, v66
	v_mul_f32_e32 v66, v135, v118
	v_fma_f32 v56, v56, v133, -v69
	v_fma_f32 v62, v52, v119, -v77
	;; [unrolled: 1-line block ×3, first 2 shown]
	v_fmac_f32_e32 v138, v55, v125
	v_fmac_f32_e32 v78, v53, v119
	v_fma_f32 v44, v44, 2.0, -v48
	ds_store_b64 v159, v[48:49] offset:4624
	v_fma_f32 v48, v135, v117, -v65
	v_fmac_f32_e32 v66, v136, v117
	v_sub_f32_e32 v52, v40, v56
	v_sub_f32_e32 v56, v36, v58
	v_dual_sub_f32 v58, v38, v59 :: v_dual_sub_f32 v59, v39, v76
	v_sub_f32_e32 v55, v43, v72
	v_sub_f32_e32 v53, v41, v70
	;; [unrolled: 1-line block ×3, first 2 shown]
	v_dual_sub_f32 v62, v34, v63 :: v_dual_sub_f32 v63, v35, v138
	v_dual_sub_f32 v61, v33, v78 :: v_dual_sub_f32 v54, v42, v57
	v_sub_f32_e32 v135, v139, v48
	v_sub_f32_e32 v57, v37, v74
	v_fma_f32 v45, v45, 2.0, -v49
	v_fma_f32 v46, v46, 2.0, -v50
	;; [unrolled: 1-line block ×3, first 2 shown]
	v_sub_f32_e32 v136, v140, v66
	v_fma_f32 v38, v38, 2.0, -v58
	v_fma_f32 v39, v39, 2.0, -v59
	;; [unrolled: 1-line block ×12, first 2 shown]
	ds_store_2addr_b64 v144, v[44:45], v[46:47] offset1:68
	ds_store_b64 v159, v[50:51] offset:5168
	ds_store_b64 v144, v[40:41] offset:1088
	;; [unrolled: 1-line block ×9, first 2 shown]
	ds_store_2addr_b64 v160, v[32:33], v[34:35] offset0:152 offset1:220
	ds_store_2addr_b64 v161, v[60:61], v[62:63] offset0:90 offset1:158
	s_and_saveexec_b32 s0, vcc_lo
	s_cbranch_execz .LBB0_9
; %bb.8:
	v_fma_f32 v33, v140, 2.0, -v136
	v_fma_f32 v32, v139, 2.0, -v135
	ds_store_b64 v144, v[32:33] offset:4352
	ds_store_b64 v159, v[135:136] offset:8976
.LBB0_9:
	s_wait_alu 0xfffe
	s_or_b32 exec_lo, exec_lo, s0
	global_wb scope:SCOPE_SE
	s_wait_dscnt 0x0
	s_barrier_signal -1
	s_barrier_wait -1
	global_inv scope:SCOPE_SE
	global_load_b64 v[40:41], v[141:142], off offset:9248
	s_add_nc_u64 s[0:1], s[8:9], 0x2420
	s_clause 0xb
	global_load_b64 v[44:45], v157, s[0:1] offset:544
	global_load_b64 v[46:47], v157, s[0:1] offset:1088
	;; [unrolled: 1-line block ×12, first 2 shown]
	ds_load_2addr_b64 v[32:35], v144 offset1:68
	ds_load_2addr_b64 v[36:39], v144 offset0:136 offset1:204
	s_wait_loadcnt_dscnt 0xb01
	v_dual_mul_f32 v163, v34, v45 :: v_dual_add_nc_u32 v48, 0x800, v144
	s_delay_alu instid0(VALU_DEP_1) | instskip(SKIP_2) | instid1(VALU_DEP_3)
	v_dual_fmac_f32 v163, v35, v44 :: v_dual_mul_f32 v42, v33, v41
	v_mul_f32_e32 v161, v32, v41
	v_mul_f32_e32 v41, v35, v45
	v_fma_f32 v160, v32, v40, -v42
	s_wait_loadcnt_dscnt 0xa00
	v_mul_f32_e32 v32, v37, v47
	v_fmac_f32_e32 v161, v33, v40
	v_fma_f32 v162, v34, v44, -v41
	ds_load_2addr_b64 v[40:43], v48 offset0:16 offset1:84
	v_mul_f32_e32 v45, v36, v47
	v_fma_f32 v44, v36, v46, -v32
	ds_load_2addr_b64 v[32:35], v48 offset0:152 offset1:220
	s_wait_loadcnt 0x9
	v_mul_f32_e32 v36, v39, v50
	v_mul_f32_e32 v47, v38, v50
	v_fmac_f32_e32 v45, v37, v46
	s_delay_alu instid0(VALU_DEP_3)
	v_fma_f32 v46, v38, v49, -v36
	s_wait_loadcnt_dscnt 0x801
	v_mul_f32_e32 v36, v41, v52
	v_mul_f32_e32 v165, v40, v52
	s_wait_loadcnt 0x7
	v_mul_f32_e32 v37, v43, v54
	v_mul_f32_e32 v52, v42, v54
	s_wait_loadcnt_dscnt 0x500
	v_mul_f32_e32 v54, v34, v58
	v_fma_f32 v164, v40, v51, -v36
	v_dual_mul_f32 v40, v33, v56 :: v_dual_fmac_f32 v47, v39, v49
	s_delay_alu instid0(VALU_DEP_3)
	v_dual_fmac_f32 v54, v35, v57 :: v_dual_add_nc_u32 v49, 0x1000, v144
	v_fmac_f32_e32 v165, v41, v51
	v_fma_f32 v51, v42, v53, -v37
	v_fmac_f32_e32 v52, v43, v53
	ds_load_2addr_b64 v[36:39], v49 offset0:32 offset1:100
	global_load_b64 v[42:43], v157, s[0:1] offset:7072
	v_mul_f32_e32 v41, v32, v56
	v_fma_f32 v40, v32, v55, -v40
	v_mul_f32_e32 v32, v35, v58
	s_delay_alu instid0(VALU_DEP_1)
	v_fma_f32 v53, v34, v57, -v32
	global_load_b64 v[57:58], v157, s[0:1] offset:7616
	s_wait_loadcnt_dscnt 0x600
	v_mul_f32_e32 v56, v36, v60
	v_mul_f32_e32 v50, v37, v60
	s_wait_loadcnt 0x5
	s_delay_alu instid0(VALU_DEP_2)
	v_dual_fmac_f32 v56, v37, v59 :: v_dual_mul_f32 v37, v38, v62
	v_fmac_f32_e32 v41, v33, v55
	ds_load_2addr_b64 v[32:35], v49 offset0:168 offset1:236
	v_fma_f32 v55, v36, v59, -v50
	v_mul_f32_e32 v36, v39, v62
	v_dual_fmac_f32 v37, v39, v61 :: v_dual_add_nc_u32 v50, 0x1800, v144
	s_delay_alu instid0(VALU_DEP_2)
	v_fma_f32 v36, v38, v61, -v36
	global_load_b64 v[61:62], v157, s[0:1] offset:8160
	s_wait_loadcnt_dscnt 0x500
	v_mul_f32_e32 v38, v33, v138
	v_mul_f32_e32 v39, v32, v138
	s_wait_loadcnt 0x4
	v_mul_f32_e32 v59, v35, v140
	v_mul_f32_e32 v60, v34, v140
	v_fma_f32 v38, v32, v137, -v38
	v_fmac_f32_e32 v39, v33, v137
	s_delay_alu instid0(VALU_DEP_4) | instskip(NEXT) | instid1(VALU_DEP_4)
	v_fma_f32 v59, v34, v139, -v59
	v_fmac_f32_e32 v60, v35, v139
	global_load_b64 v[139:140], v157, s[0:1] offset:8704
	ds_load_2addr_b64 v[32:35], v50 offset0:48 offset1:116
	s_wait_loadcnt_dscnt 0x400
	v_mul_f32_e32 v63, v33, v142
	v_mul_f32_e32 v138, v32, v142
	s_delay_alu instid0(VALU_DEP_2) | instskip(NEXT) | instid1(VALU_DEP_2)
	v_fma_f32 v137, v32, v141, -v63
	v_fmac_f32_e32 v138, v33, v141
	s_wait_loadcnt 0x3
	v_mul_f32_e32 v32, v35, v43
	v_mul_f32_e32 v142, v34, v43
	s_delay_alu instid0(VALU_DEP_2) | instskip(NEXT) | instid1(VALU_DEP_2)
	v_fma_f32 v141, v34, v42, -v32
	v_fmac_f32_e32 v142, v35, v42
	ds_load_2addr_b64 v[32:35], v50 offset0:184 offset1:252
	s_wait_loadcnt_dscnt 0x200
	v_mul_f32_e32 v43, v32, v58
	v_mul_f32_e32 v42, v33, v58
	s_delay_alu instid0(VALU_DEP_2) | instskip(SKIP_2) | instid1(VALU_DEP_1)
	v_fmac_f32_e32 v43, v33, v57
	s_wait_loadcnt 0x1
	v_mul_f32_e32 v33, v34, v62
	v_fmac_f32_e32 v33, v35, v61
	v_fma_f32 v42, v32, v57, -v42
	v_mul_f32_e32 v32, v35, v62
	s_delay_alu instid0(VALU_DEP_1) | instskip(SKIP_4) | instid1(VALU_DEP_2)
	v_fma_f32 v32, v34, v61, -v32
	ds_load_b64 v[34:35], v144 offset:8704
	s_wait_loadcnt_dscnt 0x0
	v_mul_f32_e32 v57, v35, v140
	v_mul_f32_e32 v58, v34, v140
	v_fma_f32 v57, v34, v139, -v57
	s_delay_alu instid0(VALU_DEP_2)
	v_fmac_f32_e32 v58, v35, v139
	ds_store_2addr_b64 v144, v[160:161], v[162:163] offset1:68
	ds_store_2addr_b64 v144, v[44:45], v[46:47] offset0:136 offset1:204
	ds_store_2addr_b64 v48, v[164:165], v[51:52] offset0:16 offset1:84
	;; [unrolled: 1-line block ×7, first 2 shown]
	ds_store_b64 v144, v[57:58] offset:8704
	global_wb scope:SCOPE_SE
	s_wait_dscnt 0x0
	s_barrier_signal -1
	s_barrier_wait -1
	global_inv scope:SCOPE_SE
	ds_load_2addr_b64 v[32:35], v144 offset1:68
	ds_load_b64 v[44:45], v144 offset:8704
	ds_load_2addr_b64 v[176:179], v49 offset0:168 offset1:236
	ds_load_2addr_b64 v[190:193], v49 offset0:32 offset1:100
	;; [unrolled: 1-line block ×4, first 2 shown]
	s_wait_dscnt 0x4
	v_dual_add_f32 v37, v45, v35 :: v_dual_add_f32 v38, v44, v34
	v_dual_sub_f32 v36, v35, v45 :: v_dual_sub_f32 v39, v34, v44
	s_delay_alu instid0(VALU_DEP_2) | instskip(SKIP_1) | instid1(VALU_DEP_3)
	v_mul_f32_e32 v43, 0x3f3d2fb0, v37
	v_mul_f32_e32 v41, 0x3f6eb680, v37
	;; [unrolled: 1-line block ×6, first 2 shown]
	s_delay_alu instid0(VALU_DEP_4)
	v_fmamk_f32 v59, v38, 0x3f3d2fb0, v42
	v_mul_f32_e32 v40, 0xbeb8f4ab, v36
	v_mul_f32_e32 v46, 0xbf65296c, v36
	;; [unrolled: 1-line block ×4, first 2 shown]
	v_fmamk_f32 v70, v39, 0x3f7ee86f, v52
	v_fmamk_f32 v58, v38, 0x3f6eb680, v40
	v_fmac_f32_e32 v52, 0xbf7ee86f, v39
	v_fmamk_f32 v63, v39, 0x3f65296c, v47
	v_fmac_f32_e32 v47, 0xbf65296c, v39
	v_fmamk_f32 v60, v38, 0x3ee437d1, v46
	v_fma_f32 v46, 0x3ee437d1, v38, -v46
	v_add_f32_e32 v140, v33, v52
	v_mul_f32_e32 v53, 0xbf763a35, v36
	v_dual_mul_f32 v56, 0xbf1a4643, v37 :: v_dual_add_f32 v185, v32, v58
	v_mul_f32_e32 v55, 0xbf4c4adb, v36
	v_fma_f32 v40, 0x3f6eb680, v38, -v40
	v_mul_f32_e32 v65, 0xbf59a7d5, v37
	v_dual_mul_f32 v37, 0xbf7ba420, v37 :: v_dual_add_f32 v164, v32, v60
	v_mul_f32_e32 v36, 0xbe3c28d5, v36
	v_fmamk_f32 v67, v38, 0xbf59a7d5, v57
	v_fma_f32 v68, 0xbf59a7d5, v38, -v57
	v_add_f32_e32 v161, v32, v46
	v_dual_fmamk_f32 v57, v39, 0x3f2c7751, v43 :: v_dual_add_f32 v142, v33, v70
	v_fmac_f32_e32 v43, 0xbf2c7751, v39
	v_fma_f32 v42, 0x3f3d2fb0, v38, -v42
	v_fmamk_f32 v61, v38, 0x3dbcf732, v51
	v_fma_f32 v51, 0x3dbcf732, v38, -v51
	v_fmamk_f32 v71, v39, 0x3f763a35, v54
	v_fmac_f32_e32 v54, 0xbf763a35, v39
	v_dual_fmamk_f32 v62, v38, 0xbe8c1d8e, v53 :: v_dual_add_f32 v169, v32, v59
	v_fma_f32 v53, 0xbe8c1d8e, v38, -v53
	v_dual_fmamk_f32 v72, v39, 0x3f4c4adb, v56 :: v_dual_add_f32 v157, v32, v61
	v_fmac_f32_e32 v56, 0xbf4c4adb, v39
	v_dual_fmamk_f32 v66, v38, 0xbf1a4643, v55 :: v_dual_add_f32 v165, v33, v43
	v_fma_f32 v55, 0xbf1a4643, v38, -v55
	v_dual_fmamk_f32 v74, v39, 0x3e3c28d5, v37 :: v_dual_add_f32 v141, v32, v51
	;; [unrolled: 4-line block ×3, first 2 shown]
	v_dual_fmac_f32 v41, 0xbeb8f4ab, v39 :: v_dual_add_f32 v138, v32, v40
	v_dual_fmamk_f32 v73, v39, 0x3f06c442, v65 :: v_dual_add_f32 v60, v32, v66
	v_dual_fmac_f32 v65, 0xbf06c442, v39 :: v_dual_add_f32 v46, v32, v68
	v_add_f32_e32 v39, v32, v34
	v_add_f32_e32 v184, v33, v38
	;; [unrolled: 1-line block ×6, first 2 shown]
	v_dual_add_f32 v62, v32, v53 :: v_dual_add_f32 v63, v33, v71
	v_dual_add_f32 v61, v33, v54 :: v_dual_add_f32 v58, v32, v55
	v_add_f32_e32 v59, v33, v72
	v_dual_add_f32 v55, v33, v73 :: v_dual_add_f32 v52, v32, v36
	v_add_f32_e32 v47, v33, v65
	;; [unrolled: 2-line block ×3, first 2 shown]
	v_add_f32_e32 v36, v33, v35
	v_dual_add_f32 v57, v33, v56 :: v_dual_add_f32 v56, v32, v67
	ds_load_2addr_b64 v[32:35], v144 offset0:136 offset1:204
	s_wait_dscnt 0x0
	v_dual_add_f32 v36, v36, v33 :: v_dual_add_f32 v37, v39, v32
	s_delay_alu instid0(VALU_DEP_1) | instskip(NEXT) | instid1(VALU_DEP_2)
	v_dual_add_f32 v172, v186, v34 :: v_dual_add_f32 v41, v36, v35
	v_add_f32_e32 v40, v37, v34
	ds_load_2addr_b64 v[36:39], v48 offset0:16 offset1:84
	s_wait_dscnt 0x0
	v_dual_add_f32 v40, v40, v36 :: v_dual_add_f32 v41, v41, v37
	v_sub_f32_e32 v171, v36, v182
	s_delay_alu instid0(VALU_DEP_2)
	v_dual_add_f32 v65, v40, v38 :: v_dual_add_f32 v66, v41, v39
	ds_load_2addr_b64 v[40:43], v48 offset0:152 offset1:220
	global_wb scope:SCOPE_SE
	s_wait_dscnt 0x0
	s_barrier_signal -1
	s_barrier_wait -1
	global_inv scope:SCOPE_SE
	v_dual_sub_f32 v174, v43, v177 :: v_dual_add_f32 v65, v65, v40
	v_add_f32_e32 v66, v66, v41
	v_add_f32_e32 v162, v178, v40
	v_dual_sub_f32 v40, v40, v178 :: v_dual_sub_f32 v167, v41, v179
	v_add_f32_e32 v170, v176, v42
	v_dual_add_f32 v65, v65, v42 :: v_dual_sub_f32 v42, v42, v176
	v_add_f32_e32 v66, v66, v43
	v_add_f32_e32 v175, v177, v43
	;; [unrolled: 1-line block ×3, first 2 shown]
	s_delay_alu instid0(VALU_DEP_4) | instskip(NEXT) | instid1(VALU_DEP_4)
	v_add_f32_e32 v43, v65, v190
	v_add_f32_e32 v65, v66, v191
	s_delay_alu instid0(VALU_DEP_2) | instskip(NEXT) | instid1(VALU_DEP_2)
	v_add_f32_e32 v43, v43, v192
	v_add_f32_e32 v65, v65, v193
	s_delay_alu instid0(VALU_DEP_2) | instskip(NEXT) | instid1(VALU_DEP_1)
	v_dual_add_f32 v43, v43, v176 :: v_dual_add_f32 v176, v181, v39
	v_dual_add_f32 v66, v43, v178 :: v_dual_add_f32 v43, v182, v36
	s_delay_alu instid0(VALU_DEP_3) | instskip(SKIP_1) | instid1(VALU_DEP_2)
	v_dual_sub_f32 v36, v38, v180 :: v_dual_add_f32 v65, v65, v177
	v_add_f32_e32 v177, v183, v37
	v_dual_sub_f32 v178, v39, v181 :: v_dual_add_f32 v65, v65, v179
	v_sub_f32_e32 v179, v37, v183
	v_dual_add_f32 v37, v180, v38 :: v_dual_add_f32 v38, v66, v180
	s_delay_alu instid0(VALU_DEP_3) | instskip(NEXT) | instid1(VALU_DEP_1)
	v_dual_add_f32 v180, v187, v35 :: v_dual_add_f32 v39, v65, v181
	v_dual_sub_f32 v173, v34, v186 :: v_dual_add_f32 v66, v39, v183
	v_sub_f32_e32 v183, v33, v189
	s_delay_alu instid0(VALU_DEP_4) | instskip(SKIP_1) | instid1(VALU_DEP_2)
	v_dual_add_f32 v65, v38, v182 :: v_dual_add_f32 v38, v188, v32
	v_dual_sub_f32 v39, v32, v188 :: v_dual_sub_f32 v182, v35, v187
	v_add_f32_e32 v32, v65, v186
	s_delay_alu instid0(VALU_DEP_2) | instskip(NEXT) | instid1(VALU_DEP_2)
	v_dual_sub_f32 v186, v190, v192 :: v_dual_mul_f32 v65, 0xbf65296c, v182
	v_add_f32_e32 v32, v32, v188
	v_sub_f32_e32 v188, v191, v193
	s_delay_alu instid0(VALU_DEP_2) | instskip(SKIP_2) | instid1(VALU_DEP_2)
	v_add_f32_e32 v32, v32, v44
	v_dual_mul_f32 v44, 0xbf2c7751, v183 :: v_dual_add_f32 v181, v189, v33
	v_dual_add_f32 v33, v66, v187 :: v_dual_fmamk_f32 v66, v172, 0x3ee437d1, v65
	v_dual_add_f32 v187, v192, v190 :: v_dual_fmamk_f32 v34, v38, 0x3f3d2fb0, v44
	v_fma_f32 v44, 0x3f3d2fb0, v38, -v44
	s_delay_alu instid0(VALU_DEP_2) | instskip(NEXT) | instid1(VALU_DEP_2)
	v_add_f32_e32 v34, v34, v185
	v_dual_add_f32 v33, v33, v189 :: v_dual_add_f32 v44, v44, v138
	s_delay_alu instid0(VALU_DEP_1) | instskip(SKIP_2) | instid1(VALU_DEP_2)
	v_dual_add_f32 v34, v66, v34 :: v_dual_add_f32 v33, v33, v45
	v_mul_f32_e32 v45, 0x3f3d2fb0, v181
	v_mul_f32_e32 v66, 0x3ee437d1, v180
	v_fmamk_f32 v35, v39, 0x3f2c7751, v45
	s_delay_alu instid0(VALU_DEP_2) | instskip(SKIP_2) | instid1(VALU_DEP_4)
	v_fmamk_f32 v67, v173, 0x3f65296c, v66
	v_fmac_f32_e32 v66, 0xbf65296c, v173
	v_fma_f32 v65, 0x3ee437d1, v172, -v65
	v_add_f32_e32 v35, v35, v184
	s_delay_alu instid0(VALU_DEP_1) | instskip(SKIP_1) | instid1(VALU_DEP_1)
	v_dual_add_f32 v44, v65, v44 :: v_dual_add_f32 v35, v67, v35
	v_mul_f32_e32 v67, 0xbf7ee86f, v179
	v_dual_fmamk_f32 v68, v43, 0x3dbcf732, v67 :: v_dual_add_f32 v189, v193, v191
	v_fma_f32 v65, 0x3dbcf732, v43, -v67
	v_mul_f32_e32 v67, 0xbf4c4adb, v182
	s_delay_alu instid0(VALU_DEP_3) | instskip(SKIP_1) | instid1(VALU_DEP_1)
	v_add_f32_e32 v34, v68, v34
	v_mul_f32_e32 v68, 0x3dbcf732, v177
	v_dual_add_f32 v44, v65, v44 :: v_dual_fmamk_f32 v69, v171, 0x3f7ee86f, v68
	v_fmac_f32_e32 v68, 0xbf7ee86f, v171
	s_delay_alu instid0(VALU_DEP_2) | instskip(SKIP_1) | instid1(VALU_DEP_1)
	v_add_f32_e32 v35, v69, v35
	v_mul_f32_e32 v69, 0xbf763a35, v178
	v_fmamk_f32 v70, v37, 0xbe8c1d8e, v69
	v_fma_f32 v65, 0xbe8c1d8e, v37, -v69
	s_delay_alu instid0(VALU_DEP_2) | instskip(SKIP_1) | instid1(VALU_DEP_1)
	v_add_f32_e32 v34, v70, v34
	v_mul_f32_e32 v70, 0xbe8c1d8e, v176
	v_dual_add_f32 v44, v65, v44 :: v_dual_fmamk_f32 v71, v36, 0x3f763a35, v70
	s_delay_alu instid0(VALU_DEP_1) | instskip(SKIP_1) | instid1(VALU_DEP_1)
	v_dual_fmac_f32 v70, 0xbf763a35, v36 :: v_dual_add_f32 v35, v71, v35
	v_mul_f32_e32 v71, 0xbf4c4adb, v167
	v_fma_f32 v65, 0xbf1a4643, v162, -v71
	s_delay_alu instid0(VALU_DEP_1) | instskip(SKIP_1) | instid1(VALU_DEP_1)
	v_add_f32_e32 v44, v65, v44
	v_fmamk_f32 v72, v162, 0xbf1a4643, v71
	v_add_f32_e32 v34, v72, v34
	v_mul_f32_e32 v72, 0xbf1a4643, v41
	v_fmac_f32_e32 v45, 0xbf2c7751, v39
	s_delay_alu instid0(VALU_DEP_2) | instskip(NEXT) | instid1(VALU_DEP_2)
	v_fmamk_f32 v73, v40, 0x3f4c4adb, v72
	v_dual_add_f32 v45, v45, v137 :: v_dual_fmac_f32 v72, 0xbf4c4adb, v40
	s_delay_alu instid0(VALU_DEP_2) | instskip(SKIP_1) | instid1(VALU_DEP_3)
	v_add_f32_e32 v35, v73, v35
	v_mul_f32_e32 v73, 0xbf06c442, v174
	v_add_f32_e32 v45, v66, v45
	v_mul_f32_e32 v66, 0x3dbcf732, v181
	s_delay_alu instid0(VALU_DEP_2) | instskip(SKIP_1) | instid1(VALU_DEP_2)
	v_dual_fmamk_f32 v74, v170, 0xbf59a7d5, v73 :: v_dual_add_f32 v45, v68, v45
	v_fmamk_f32 v68, v172, 0xbf1a4643, v67
	v_add_f32_e32 v34, v74, v34
	s_delay_alu instid0(VALU_DEP_3) | instskip(NEXT) | instid1(VALU_DEP_1)
	v_dual_mul_f32 v74, 0xbf59a7d5, v175 :: v_dual_add_f32 v45, v70, v45
	v_fmamk_f32 v75, v42, 0x3f06c442, v74
	s_delay_alu instid0(VALU_DEP_2) | instskip(NEXT) | instid1(VALU_DEP_2)
	v_dual_add_f32 v45, v72, v45 :: v_dual_fmac_f32 v74, 0xbf06c442, v42
	v_add_f32_e32 v35, v75, v35
	v_mul_f32_e32 v75, 0xbe3c28d5, v188
	s_delay_alu instid0(VALU_DEP_1) | instskip(NEXT) | instid1(VALU_DEP_1)
	v_dual_add_f32 v45, v74, v45 :: v_dual_fmamk_f32 v76, v187, 0xbf7ba420, v75
	v_add_f32_e32 v34, v76, v34
	v_mul_f32_e32 v76, 0xbf7ba420, v189
	s_delay_alu instid0(VALU_DEP_1) | instskip(SKIP_1) | instid1(VALU_DEP_1)
	v_fmamk_f32 v77, v186, 0x3e3c28d5, v76
	v_fmac_f32_e32 v76, 0xbe3c28d5, v186
	v_add_f32_e32 v138, v76, v45
	v_fma_f32 v65, 0xbf59a7d5, v170, -v73
	s_delay_alu instid0(VALU_DEP_1) | instskip(SKIP_1) | instid1(VALU_DEP_2)
	v_dual_fmamk_f32 v45, v39, 0x3f7ee86f, v66 :: v_dual_add_f32 v44, v65, v44
	v_fma_f32 v65, 0xbf7ba420, v187, -v75
	v_dual_add_f32 v45, v45, v168 :: v_dual_fmac_f32 v66, 0xbf7ee86f, v39
	s_delay_alu instid0(VALU_DEP_2) | instskip(NEXT) | instid1(VALU_DEP_2)
	v_add_f32_e32 v137, v65, v44
	v_dual_mul_f32 v65, 0xbf7ee86f, v183 :: v_dual_add_f32 v66, v66, v165
	s_delay_alu instid0(VALU_DEP_1) | instskip(NEXT) | instid1(VALU_DEP_1)
	v_fmamk_f32 v44, v38, 0x3dbcf732, v65
	v_add_f32_e32 v44, v44, v169
	s_delay_alu instid0(VALU_DEP_1) | instskip(SKIP_1) | instid1(VALU_DEP_1)
	v_add_f32_e32 v44, v68, v44
	v_dual_mul_f32 v68, 0xbf1a4643, v180 :: v_dual_add_f32 v35, v77, v35
	v_fmamk_f32 v69, v173, 0x3f4c4adb, v68
	s_delay_alu instid0(VALU_DEP_1) | instskip(SKIP_2) | instid1(VALU_DEP_2)
	v_add_f32_e32 v45, v69, v45
	v_mul_f32_e32 v69, 0xbe3c28d5, v179
	v_fmac_f32_e32 v68, 0xbf4c4adb, v173
	v_fmamk_f32 v70, v43, 0xbf7ba420, v69
	s_delay_alu instid0(VALU_DEP_2) | instskip(NEXT) | instid1(VALU_DEP_2)
	v_add_f32_e32 v66, v68, v66
	v_add_f32_e32 v44, v70, v44
	v_mul_f32_e32 v70, 0xbf7ba420, v177
	s_delay_alu instid0(VALU_DEP_1) | instskip(NEXT) | instid1(VALU_DEP_1)
	v_fmamk_f32 v71, v171, 0x3e3c28d5, v70
	v_add_f32_e32 v45, v71, v45
	v_mul_f32_e32 v71, 0x3f06c442, v178
	s_delay_alu instid0(VALU_DEP_1) | instskip(NEXT) | instid1(VALU_DEP_1)
	v_fmamk_f32 v72, v37, 0xbf59a7d5, v71
	v_add_f32_e32 v44, v72, v44
	v_mul_f32_e32 v72, 0xbf59a7d5, v176
	v_fma_f32 v65, 0x3dbcf732, v38, -v65
	s_delay_alu instid0(VALU_DEP_1) | instskip(NEXT) | instid1(VALU_DEP_1)
	v_dual_add_f32 v65, v65, v166 :: v_dual_fmac_f32 v70, 0xbe3c28d5, v171
	v_dual_fmamk_f32 v73, v36, 0xbf06c442, v72 :: v_dual_add_f32 v66, v70, v66
	s_delay_alu instid0(VALU_DEP_1) | instskip(SKIP_1) | instid1(VALU_DEP_1)
	v_add_f32_e32 v45, v73, v45
	v_mul_f32_e32 v73, 0x3f763a35, v167
	v_fmamk_f32 v74, v162, 0xbe8c1d8e, v73
	s_delay_alu instid0(VALU_DEP_1) | instskip(SKIP_1) | instid1(VALU_DEP_1)
	v_add_f32_e32 v44, v74, v44
	v_mul_f32_e32 v74, 0xbe8c1d8e, v41
	v_fmamk_f32 v75, v40, 0xbf763a35, v74
	s_delay_alu instid0(VALU_DEP_1) | instskip(SKIP_2) | instid1(VALU_DEP_2)
	v_dual_fmac_f32 v74, 0x3f763a35, v40 :: v_dual_add_f32 v45, v75, v45
	v_mul_f32_e32 v75, 0x3f65296c, v174
	v_fmac_f32_e32 v72, 0x3f06c442, v36
	v_fmamk_f32 v76, v170, 0x3ee437d1, v75
	s_delay_alu instid0(VALU_DEP_2) | instskip(NEXT) | instid1(VALU_DEP_2)
	v_add_f32_e32 v66, v72, v66
	v_add_f32_e32 v44, v76, v44
	v_fma_f32 v67, 0xbf1a4643, v172, -v67
	v_mul_f32_e32 v76, 0x3ee437d1, v175
	s_delay_alu instid0(VALU_DEP_2) | instskip(SKIP_1) | instid1(VALU_DEP_3)
	v_dual_add_f32 v66, v74, v66 :: v_dual_add_f32 v65, v67, v65
	v_fma_f32 v67, 0xbf7ba420, v43, -v69
	v_fmamk_f32 v77, v42, 0xbf65296c, v76
	v_fmac_f32_e32 v76, 0x3f65296c, v42
	v_mul_f32_e32 v69, 0x3e3c28d5, v182
	s_delay_alu instid0(VALU_DEP_4) | instskip(SKIP_1) | instid1(VALU_DEP_4)
	v_add_f32_e32 v65, v67, v65
	v_fma_f32 v67, 0xbf59a7d5, v37, -v71
	v_dual_add_f32 v66, v76, v66 :: v_dual_add_f32 v45, v77, v45
	v_mul_f32_e32 v77, 0x3eb8f4ab, v188
	s_delay_alu instid0(VALU_DEP_3) | instskip(SKIP_1) | instid1(VALU_DEP_3)
	v_dual_fmamk_f32 v70, v172, 0xbf7ba420, v69 :: v_dual_add_f32 v65, v67, v65
	v_fma_f32 v67, 0xbe8c1d8e, v162, -v73
	v_fmamk_f32 v78, v187, 0x3f6eb680, v77
	s_delay_alu instid0(VALU_DEP_2) | instskip(SKIP_1) | instid1(VALU_DEP_3)
	v_add_f32_e32 v65, v67, v65
	v_fma_f32 v67, 0x3ee437d1, v170, -v75
	v_add_f32_e32 v44, v78, v44
	v_mul_f32_e32 v78, 0x3f6eb680, v189
	s_delay_alu instid0(VALU_DEP_3) | instskip(NEXT) | instid1(VALU_DEP_2)
	v_add_f32_e32 v65, v67, v65
	v_fmamk_f32 v147, v186, 0xbeb8f4ab, v78
	v_fmac_f32_e32 v78, 0x3eb8f4ab, v186
	v_fma_f32 v67, 0x3f6eb680, v187, -v77
	s_delay_alu instid0(VALU_DEP_1) | instskip(SKIP_1) | instid1(VALU_DEP_1)
	v_dual_add_f32 v166, v78, v66 :: v_dual_add_f32 v165, v67, v65
	v_mul_f32_e32 v65, 0xbf4c4adb, v183
	v_dual_mul_f32 v67, 0xbf1a4643, v181 :: v_dual_fmamk_f32 v66, v38, 0xbf1a4643, v65
	v_fma_f32 v65, 0xbf1a4643, v38, -v65
	s_delay_alu instid0(VALU_DEP_1) | instskip(NEXT) | instid1(VALU_DEP_1)
	v_dual_add_f32 v66, v66, v164 :: v_dual_add_f32 v65, v65, v161
	v_add_f32_e32 v66, v70, v66
	v_mul_f32_e32 v70, 0xbf7ba420, v180
	s_delay_alu instid0(VALU_DEP_1) | instskip(SKIP_3) | instid1(VALU_DEP_1)
	v_fmamk_f32 v71, v173, 0xbe3c28d5, v70
	v_fmac_f32_e32 v70, 0x3e3c28d5, v173
	v_fmamk_f32 v68, v39, 0x3f4c4adb, v67
	v_fmac_f32_e32 v67, 0xbf4c4adb, v39
	v_add_f32_e32 v67, v67, v160
	s_delay_alu instid0(VALU_DEP_1) | instskip(NEXT) | instid1(VALU_DEP_4)
	v_add_f32_e32 v67, v70, v67
	v_dual_add_f32 v68, v68, v163 :: v_dual_add_f32 v45, v147, v45
	s_delay_alu instid0(VALU_DEP_1) | instskip(NEXT) | instid1(VALU_DEP_1)
	v_dual_add_f32 v68, v71, v68 :: v_dual_mul_f32 v71, 0x3f763a35, v179
	v_fmamk_f32 v72, v43, 0xbe8c1d8e, v71
	s_delay_alu instid0(VALU_DEP_1) | instskip(SKIP_1) | instid1(VALU_DEP_1)
	v_add_f32_e32 v66, v72, v66
	v_mul_f32_e32 v72, 0xbe8c1d8e, v177
	v_fmamk_f32 v73, v171, 0xbf763a35, v72
	v_fmac_f32_e32 v72, 0x3f763a35, v171
	s_delay_alu instid0(VALU_DEP_2) | instskip(NEXT) | instid1(VALU_DEP_1)
	v_dual_add_f32 v68, v73, v68 :: v_dual_mul_f32 v73, 0x3f2c7751, v178
	v_dual_add_f32 v67, v72, v67 :: v_dual_fmamk_f32 v74, v37, 0x3f3d2fb0, v73
	s_delay_alu instid0(VALU_DEP_1) | instskip(SKIP_1) | instid1(VALU_DEP_1)
	v_add_f32_e32 v66, v74, v66
	v_mul_f32_e32 v74, 0x3f3d2fb0, v176
	v_fmamk_f32 v75, v36, 0xbf2c7751, v74
	s_delay_alu instid0(VALU_DEP_1) | instskip(NEXT) | instid1(VALU_DEP_1)
	v_dual_add_f32 v68, v75, v68 :: v_dual_mul_f32 v75, 0xbeb8f4ab, v167
	v_fmamk_f32 v76, v162, 0x3f6eb680, v75
	s_delay_alu instid0(VALU_DEP_1) | instskip(SKIP_1) | instid1(VALU_DEP_1)
	v_add_f32_e32 v66, v76, v66
	v_mul_f32_e32 v76, 0x3f6eb680, v41
	v_fmamk_f32 v77, v40, 0x3eb8f4ab, v76
	v_fmac_f32_e32 v76, 0xbeb8f4ab, v40
	s_delay_alu instid0(VALU_DEP_2) | instskip(NEXT) | instid1(VALU_DEP_1)
	v_dual_add_f32 v68, v77, v68 :: v_dual_mul_f32 v77, 0xbf7ee86f, v174
	v_fmamk_f32 v78, v170, 0x3dbcf732, v77
	s_delay_alu instid0(VALU_DEP_1) | instskip(SKIP_1) | instid1(VALU_DEP_1)
	v_add_f32_e32 v66, v78, v66
	v_mul_f32_e32 v78, 0x3dbcf732, v175
	v_fmamk_f32 v147, v42, 0x3f7ee86f, v78
	v_fmac_f32_e32 v78, 0xbf7ee86f, v42
	s_delay_alu instid0(VALU_DEP_2) | instskip(SKIP_1) | instid1(VALU_DEP_1)
	v_add_f32_e32 v68, v147, v68
	v_mul_f32_e32 v147, 0xbf06c442, v188
	v_fmamk_f32 v148, v187, 0xbf59a7d5, v147
	s_delay_alu instid0(VALU_DEP_1) | instskip(NEXT) | instid1(VALU_DEP_1)
	v_dual_add_f32 v163, v148, v66 :: v_dual_mul_f32 v66, 0xbf59a7d5, v189
	v_fmamk_f32 v148, v186, 0x3f06c442, v66
	v_fmac_f32_e32 v66, 0xbf06c442, v186
	s_delay_alu instid0(VALU_DEP_2) | instskip(SKIP_2) | instid1(VALU_DEP_2)
	v_add_f32_e32 v164, v148, v68
	v_fma_f32 v68, 0xbf7ba420, v172, -v69
	v_mul_f32_e32 v69, 0x3f763a35, v182
	v_add_f32_e32 v65, v68, v65
	v_fma_f32 v68, 0xbe8c1d8e, v43, -v71
	s_delay_alu instid0(VALU_DEP_3) | instskip(NEXT) | instid1(VALU_DEP_2)
	v_fmamk_f32 v70, v172, 0xbe8c1d8e, v69
	v_add_f32_e32 v65, v68, v65
	v_fma_f32 v68, 0x3f3d2fb0, v37, -v73
	s_delay_alu instid0(VALU_DEP_1) | instskip(SKIP_1) | instid1(VALU_DEP_2)
	v_dual_add_f32 v65, v68, v65 :: v_dual_fmac_f32 v74, 0x3f2c7751, v36
	v_fma_f32 v68, 0x3f6eb680, v162, -v75
	v_add_f32_e32 v67, v74, v67
	s_delay_alu instid0(VALU_DEP_2) | instskip(SKIP_1) | instid1(VALU_DEP_3)
	v_add_f32_e32 v65, v68, v65
	v_fma_f32 v68, 0x3dbcf732, v170, -v77
	v_add_f32_e32 v67, v76, v67
	s_delay_alu instid0(VALU_DEP_2) | instskip(SKIP_1) | instid1(VALU_DEP_1)
	v_add_f32_e32 v65, v68, v65
	v_fma_f32 v68, 0xbf59a7d5, v187, -v147
	v_dual_add_f32 v67, v78, v67 :: v_dual_add_f32 v160, v68, v65
	v_mul_f32_e32 v65, 0xbe3c28d5, v183
	s_delay_alu instid0(VALU_DEP_2) | instskip(NEXT) | instid1(VALU_DEP_2)
	v_add_f32_e32 v161, v66, v67
	v_dual_mul_f32 v67, 0xbf7ba420, v181 :: v_dual_fmamk_f32 v66, v38, 0xbf7ba420, v65
	v_fma_f32 v65, 0xbf7ba420, v38, -v65
	s_delay_alu instid0(VALU_DEP_2) | instskip(NEXT) | instid1(VALU_DEP_3)
	v_fmamk_f32 v68, v39, 0x3e3c28d5, v67
	v_dual_fmac_f32 v67, 0xbe3c28d5, v39 :: v_dual_add_f32 v66, v66, v157
	s_delay_alu instid0(VALU_DEP_2) | instskip(NEXT) | instid1(VALU_DEP_2)
	v_dual_add_f32 v65, v65, v141 :: v_dual_add_f32 v68, v68, v142
	v_dual_add_f32 v67, v67, v140 :: v_dual_add_f32 v66, v70, v66
	v_mul_f32_e32 v70, 0xbe8c1d8e, v180
	s_delay_alu instid0(VALU_DEP_1) | instskip(NEXT) | instid1(VALU_DEP_1)
	v_fmamk_f32 v71, v173, 0xbf763a35, v70
	v_dual_add_f32 v68, v71, v68 :: v_dual_mul_f32 v71, 0x3eb8f4ab, v179
	s_delay_alu instid0(VALU_DEP_1) | instskip(NEXT) | instid1(VALU_DEP_1)
	v_fmamk_f32 v72, v43, 0x3f6eb680, v71
	v_add_f32_e32 v66, v72, v66
	v_mul_f32_e32 v72, 0x3f6eb680, v177
	s_delay_alu instid0(VALU_DEP_1) | instskip(SKIP_1) | instid1(VALU_DEP_2)
	v_fmamk_f32 v73, v171, 0xbeb8f4ab, v72
	v_fmac_f32_e32 v72, 0x3eb8f4ab, v171
	v_dual_add_f32 v68, v73, v68 :: v_dual_mul_f32 v73, 0xbf65296c, v178
	s_delay_alu instid0(VALU_DEP_1) | instskip(NEXT) | instid1(VALU_DEP_1)
	v_fmamk_f32 v74, v37, 0x3ee437d1, v73
	v_add_f32_e32 v66, v74, v66
	v_mul_f32_e32 v74, 0x3ee437d1, v176
	s_delay_alu instid0(VALU_DEP_1) | instskip(SKIP_1) | instid1(VALU_DEP_2)
	v_fmamk_f32 v75, v36, 0x3f65296c, v74
	v_fmac_f32_e32 v74, 0xbf65296c, v36
	;; [unrolled: 8-line block ×4, first 2 shown]
	v_add_f32_e32 v68, v142, v68
	v_mul_f32_e32 v142, 0x3f2c7751, v188
	s_delay_alu instid0(VALU_DEP_1) | instskip(NEXT) | instid1(VALU_DEP_1)
	v_fmamk_f32 v147, v187, 0x3f3d2fb0, v142
	v_add_f32_e32 v168, v147, v66
	v_mul_f32_e32 v66, 0x3f3d2fb0, v189
	s_delay_alu instid0(VALU_DEP_1) | instskip(NEXT) | instid1(VALU_DEP_1)
	v_fmamk_f32 v147, v186, 0xbf2c7751, v66
	v_dual_fmac_f32 v66, 0x3f2c7751, v186 :: v_dual_add_f32 v169, v147, v68
	v_fma_f32 v68, 0xbe8c1d8e, v172, -v69
	s_delay_alu instid0(VALU_DEP_1) | instskip(SKIP_1) | instid1(VALU_DEP_1)
	v_add_f32_e32 v65, v68, v65
	v_fma_f32 v68, 0x3f6eb680, v43, -v71
	v_add_f32_e32 v65, v68, v65
	v_fma_f32 v68, 0x3ee437d1, v37, -v73
	s_delay_alu instid0(VALU_DEP_1) | instskip(SKIP_2) | instid1(VALU_DEP_2)
	v_add_f32_e32 v65, v68, v65
	v_fmac_f32_e32 v70, 0x3f763a35, v173
	v_fma_f32 v68, 0xbf59a7d5, v162, -v75
	v_add_f32_e32 v67, v70, v67
	s_delay_alu instid0(VALU_DEP_2) | instskip(SKIP_1) | instid1(VALU_DEP_3)
	v_add_f32_e32 v65, v68, v65
	v_fma_f32 v68, 0xbf1a4643, v170, -v77
	v_add_f32_e32 v67, v72, v67
	s_delay_alu instid0(VALU_DEP_2) | instskip(SKIP_1) | instid1(VALU_DEP_1)
	v_add_f32_e32 v65, v68, v65
	v_fma_f32 v68, 0x3f3d2fb0, v187, -v142
	v_dual_add_f32 v67, v74, v67 :: v_dual_add_f32 v140, v68, v65
	v_mul_f32_e32 v65, 0x3f06c442, v183
	s_delay_alu instid0(VALU_DEP_2) | instskip(NEXT) | instid1(VALU_DEP_1)
	v_add_f32_e32 v67, v76, v67
	v_add_f32_e32 v67, v78, v67
	s_delay_alu instid0(VALU_DEP_1) | instskip(NEXT) | instid1(VALU_DEP_4)
	v_add_f32_e32 v141, v66, v67
	v_dual_mul_f32 v67, 0xbf59a7d5, v181 :: v_dual_fmamk_f32 v66, v38, 0xbf59a7d5, v65
	s_delay_alu instid0(VALU_DEP_1) | instskip(NEXT) | instid1(VALU_DEP_2)
	v_fmamk_f32 v68, v39, 0xbf06c442, v67
	v_add_f32_e32 v66, v66, v139
	s_delay_alu instid0(VALU_DEP_2) | instskip(NEXT) | instid1(VALU_DEP_1)
	v_dual_add_f32 v63, v68, v63 :: v_dual_mul_f32 v68, 0x3f2c7751, v182
	v_fmamk_f32 v69, v172, 0x3f3d2fb0, v68
	s_delay_alu instid0(VALU_DEP_1) | instskip(NEXT) | instid1(VALU_DEP_1)
	v_dual_add_f32 v66, v69, v66 :: v_dual_mul_f32 v69, 0x3f3d2fb0, v180
	v_fmamk_f32 v70, v173, 0xbf2c7751, v69
	v_fmac_f32_e32 v69, 0x3f2c7751, v173
	s_delay_alu instid0(VALU_DEP_2) | instskip(SKIP_1) | instid1(VALU_DEP_1)
	v_add_f32_e32 v63, v70, v63
	v_mul_f32_e32 v70, 0xbf65296c, v179
	v_fmamk_f32 v71, v43, 0x3ee437d1, v70
	s_delay_alu instid0(VALU_DEP_1) | instskip(NEXT) | instid1(VALU_DEP_1)
	v_dual_add_f32 v66, v71, v66 :: v_dual_mul_f32 v71, 0x3ee437d1, v177
	v_fmamk_f32 v72, v171, 0x3f65296c, v71
	v_fmac_f32_e32 v71, 0xbf65296c, v171
	s_delay_alu instid0(VALU_DEP_2) | instskip(NEXT) | instid1(VALU_DEP_1)
	v_dual_add_f32 v63, v72, v63 :: v_dual_mul_f32 v72, 0xbe3c28d5, v178
	v_fmamk_f32 v73, v37, 0xbf7ba420, v72
	s_delay_alu instid0(VALU_DEP_1) | instskip(NEXT) | instid1(VALU_DEP_1)
	v_dual_add_f32 v66, v73, v66 :: v_dual_mul_f32 v73, 0xbf7ba420, v176
	v_fmamk_f32 v74, v36, 0x3e3c28d5, v73
	v_fmac_f32_e32 v73, 0xbe3c28d5, v36
	s_delay_alu instid0(VALU_DEP_2) | instskip(SKIP_1) | instid1(VALU_DEP_1)
	v_add_f32_e32 v63, v74, v63
	v_mul_f32_e32 v74, 0x3f7ee86f, v167
	v_fmamk_f32 v75, v162, 0x3dbcf732, v74
	s_delay_alu instid0(VALU_DEP_1) | instskip(NEXT) | instid1(VALU_DEP_1)
	v_dual_add_f32 v66, v75, v66 :: v_dual_mul_f32 v75, 0x3dbcf732, v41
	v_fmamk_f32 v76, v40, 0xbf7ee86f, v75
	v_fmac_f32_e32 v75, 0x3f7ee86f, v40
	s_delay_alu instid0(VALU_DEP_2) | instskip(NEXT) | instid1(VALU_DEP_1)
	v_dual_add_f32 v63, v76, v63 :: v_dual_mul_f32 v76, 0xbeb8f4ab, v174
	v_fmamk_f32 v77, v170, 0x3f6eb680, v76
	s_delay_alu instid0(VALU_DEP_1) | instskip(NEXT) | instid1(VALU_DEP_1)
	v_dual_add_f32 v66, v77, v66 :: v_dual_mul_f32 v77, 0x3f6eb680, v175
	v_fmamk_f32 v78, v42, 0x3eb8f4ab, v77
	s_delay_alu instid0(VALU_DEP_1) | instskip(NEXT) | instid1(VALU_DEP_1)
	v_dual_add_f32 v63, v78, v63 :: v_dual_mul_f32 v78, 0xbf4c4adb, v188
	v_fmamk_f32 v139, v187, 0xbf1a4643, v78
	s_delay_alu instid0(VALU_DEP_1) | instskip(SKIP_1) | instid1(VALU_DEP_1)
	v_add_f32_e32 v184, v139, v66
	v_mul_f32_e32 v66, 0xbf1a4643, v189
	v_fmamk_f32 v139, v186, 0x3f4c4adb, v66
	v_fmac_f32_e32 v66, 0xbf4c4adb, v186
	v_fmac_f32_e32 v77, 0xbeb8f4ab, v42
	s_delay_alu instid0(VALU_DEP_3) | instskip(SKIP_1) | instid1(VALU_DEP_1)
	v_add_f32_e32 v185, v139, v63
	v_fma_f32 v63, 0xbf59a7d5, v38, -v65
	v_dual_add_f32 v62, v63, v62 :: v_dual_fmac_f32 v67, 0x3f06c442, v39
	s_delay_alu instid0(VALU_DEP_1) | instskip(NEXT) | instid1(VALU_DEP_1)
	v_add_f32_e32 v61, v67, v61
	v_add_f32_e32 v61, v69, v61
	s_delay_alu instid0(VALU_DEP_1) | instskip(NEXT) | instid1(VALU_DEP_1)
	v_add_f32_e32 v61, v71, v61
	v_add_f32_e32 v61, v73, v61
	s_delay_alu instid0(VALU_DEP_1) | instskip(SKIP_1) | instid1(VALU_DEP_1)
	v_add_f32_e32 v61, v75, v61
	v_fma_f32 v63, 0x3f3d2fb0, v172, -v68
	v_add_f32_e32 v62, v63, v62
	v_fma_f32 v63, 0x3ee437d1, v43, -v70
	s_delay_alu instid0(VALU_DEP_1) | instskip(SKIP_1) | instid1(VALU_DEP_1)
	v_add_f32_e32 v62, v63, v62
	v_fma_f32 v63, 0xbf7ba420, v37, -v72
	v_add_f32_e32 v62, v63, v62
	v_fma_f32 v63, 0x3dbcf732, v162, -v74
	s_delay_alu instid0(VALU_DEP_1) | instskip(SKIP_1) | instid1(VALU_DEP_1)
	v_add_f32_e32 v62, v63, v62
	v_fma_f32 v63, 0x3f6eb680, v170, -v76
	v_dual_add_f32 v62, v63, v62 :: v_dual_add_f32 v63, v77, v61
	v_fma_f32 v61, 0xbf1a4643, v187, -v78
	s_delay_alu instid0(VALU_DEP_1) | instskip(NEXT) | instid1(VALU_DEP_3)
	v_dual_mul_f32 v78, 0x3ee437d1, v189 :: v_dual_add_f32 v61, v61, v62
	v_add_f32_e32 v62, v66, v63
	v_mul_f32_e32 v63, 0x3f763a35, v183
	s_delay_alu instid0(VALU_DEP_1) | instskip(SKIP_1) | instid1(VALU_DEP_2)
	v_fmamk_f32 v65, v38, 0xbe8c1d8e, v63
	v_fma_f32 v63, 0xbe8c1d8e, v38, -v63
	v_dual_add_f32 v60, v65, v60 :: v_dual_mul_f32 v65, 0xbe8c1d8e, v181
	s_delay_alu instid0(VALU_DEP_2) | instskip(NEXT) | instid1(VALU_DEP_2)
	v_add_f32_e32 v58, v63, v58
	v_fmamk_f32 v66, v39, 0xbf763a35, v65
	v_fmac_f32_e32 v65, 0x3f763a35, v39
	s_delay_alu instid0(VALU_DEP_2) | instskip(NEXT) | instid1(VALU_DEP_2)
	v_dual_add_f32 v59, v66, v59 :: v_dual_mul_f32 v66, 0xbeb8f4ab, v182
	v_add_f32_e32 v57, v65, v57
	s_delay_alu instid0(VALU_DEP_2) | instskip(NEXT) | instid1(VALU_DEP_1)
	v_fmamk_f32 v67, v172, 0x3f6eb680, v66
	v_add_f32_e32 v60, v67, v60
	v_mul_f32_e32 v67, 0x3f6eb680, v180
	s_delay_alu instid0(VALU_DEP_1) | instskip(NEXT) | instid1(VALU_DEP_1)
	v_fmamk_f32 v68, v173, 0x3eb8f4ab, v67
	v_add_f32_e32 v59, v68, v59
	v_mul_f32_e32 v68, 0xbf06c442, v179
	s_delay_alu instid0(VALU_DEP_1) | instskip(NEXT) | instid1(VALU_DEP_1)
	v_fmamk_f32 v69, v43, 0xbf59a7d5, v68
	v_dual_add_f32 v60, v69, v60 :: v_dual_mul_f32 v69, 0xbf59a7d5, v177
	s_delay_alu instid0(VALU_DEP_1) | instskip(SKIP_1) | instid1(VALU_DEP_2)
	v_fmamk_f32 v70, v171, 0x3f06c442, v69
	v_fmac_f32_e32 v69, 0xbf06c442, v171
	v_dual_add_f32 v59, v70, v59 :: v_dual_mul_f32 v70, 0x3f7ee86f, v178
	s_delay_alu instid0(VALU_DEP_1) | instskip(NEXT) | instid1(VALU_DEP_1)
	v_fmamk_f32 v71, v37, 0x3dbcf732, v70
	v_add_f32_e32 v60, v71, v60
	v_mul_f32_e32 v71, 0x3dbcf732, v176
	s_delay_alu instid0(VALU_DEP_1) | instskip(SKIP_1) | instid1(VALU_DEP_2)
	v_fmamk_f32 v72, v36, 0xbf7ee86f, v71
	v_fmac_f32_e32 v71, 0x3f7ee86f, v36
	v_add_f32_e32 v59, v72, v59
	v_mul_f32_e32 v72, 0xbf2c7751, v167
	s_delay_alu instid0(VALU_DEP_1) | instskip(NEXT) | instid1(VALU_DEP_1)
	v_fmamk_f32 v73, v162, 0x3f3d2fb0, v72
	v_dual_add_f32 v60, v73, v60 :: v_dual_mul_f32 v73, 0x3f3d2fb0, v41
	s_delay_alu instid0(VALU_DEP_1) | instskip(SKIP_1) | instid1(VALU_DEP_2)
	v_fmamk_f32 v74, v40, 0x3f2c7751, v73
	v_fmac_f32_e32 v73, 0xbf2c7751, v40
	v_dual_add_f32 v59, v74, v59 :: v_dual_mul_f32 v74, 0xbe3c28d5, v174
	s_delay_alu instid0(VALU_DEP_1) | instskip(NEXT) | instid1(VALU_DEP_1)
	v_fmamk_f32 v75, v170, 0xbf7ba420, v74
	v_dual_add_f32 v60, v75, v60 :: v_dual_mul_f32 v75, 0xbf7ba420, v175
	s_delay_alu instid0(VALU_DEP_1) | instskip(NEXT) | instid1(VALU_DEP_1)
	v_fmamk_f32 v76, v42, 0x3e3c28d5, v75
	v_dual_add_f32 v76, v76, v59 :: v_dual_fmac_f32 v67, 0xbeb8f4ab, v173
	v_fma_f32 v63, 0x3f6eb680, v172, -v66
	s_delay_alu instid0(VALU_DEP_2) | instskip(NEXT) | instid1(VALU_DEP_1)
	v_add_f32_e32 v57, v67, v57
	v_dual_add_f32 v58, v63, v58 :: v_dual_add_f32 v57, v69, v57
	s_delay_alu instid0(VALU_DEP_1) | instskip(NEXT) | instid1(VALU_DEP_1)
	v_add_f32_e32 v57, v71, v57
	v_add_f32_e32 v57, v73, v57
	v_fma_f32 v63, 0xbf59a7d5, v43, -v68
	s_delay_alu instid0(VALU_DEP_1) | instskip(SKIP_1) | instid1(VALU_DEP_2)
	v_dual_mul_f32 v77, 0x3f65296c, v188 :: v_dual_add_f32 v58, v63, v58
	v_fma_f32 v63, 0x3dbcf732, v37, -v70
	v_fmamk_f32 v59, v187, 0x3ee437d1, v77
	s_delay_alu instid0(VALU_DEP_2) | instskip(SKIP_1) | instid1(VALU_DEP_3)
	v_add_f32_e32 v58, v63, v58
	v_fma_f32 v63, 0x3f3d2fb0, v162, -v72
	v_dual_add_f32 v59, v59, v60 :: v_dual_fmamk_f32 v60, v186, 0xbf65296c, v78
	v_fmac_f32_e32 v78, 0x3f65296c, v186
	v_fmac_f32_e32 v75, 0xbe3c28d5, v42
	s_delay_alu instid0(VALU_DEP_4) | instskip(SKIP_2) | instid1(VALU_DEP_2)
	v_add_f32_e32 v58, v63, v58
	v_fma_f32 v63, 0xbf7ba420, v170, -v74
	v_add_f32_e32 v60, v60, v76
	v_add_f32_e32 v58, v63, v58
	;; [unrolled: 1-line block ×3, first 2 shown]
	v_fma_f32 v57, 0x3ee437d1, v187, -v77
	v_mul_f32_e32 v77, 0xbf763a35, v188
	s_delay_alu instid0(VALU_DEP_2) | instskip(SKIP_2) | instid1(VALU_DEP_2)
	v_dual_add_f32 v57, v57, v58 :: v_dual_add_f32 v58, v78, v63
	v_mul_f32_e32 v63, 0x3f65296c, v183
	v_mul_f32_e32 v78, 0xbe8c1d8e, v189
	v_fmamk_f32 v65, v38, 0x3ee437d1, v63
	s_delay_alu instid0(VALU_DEP_1) | instskip(NEXT) | instid1(VALU_DEP_1)
	v_dual_add_f32 v56, v65, v56 :: v_dual_mul_f32 v65, 0x3ee437d1, v181
	v_fmamk_f32 v66, v39, 0xbf65296c, v65
	v_fmac_f32_e32 v65, 0x3f65296c, v39
	s_delay_alu instid0(VALU_DEP_2) | instskip(NEXT) | instid1(VALU_DEP_1)
	v_dual_add_f32 v55, v66, v55 :: v_dual_mul_f32 v66, 0xbf7ee86f, v182
	v_fmamk_f32 v67, v172, 0x3dbcf732, v66
	s_delay_alu instid0(VALU_DEP_1) | instskip(SKIP_1) | instid1(VALU_DEP_1)
	v_add_f32_e32 v56, v67, v56
	v_mul_f32_e32 v67, 0x3dbcf732, v180
	v_fmamk_f32 v68, v173, 0x3f7ee86f, v67
	s_delay_alu instid0(VALU_DEP_1) | instskip(SKIP_1) | instid1(VALU_DEP_1)
	v_add_f32_e32 v55, v68, v55
	v_mul_f32_e32 v68, 0x3f4c4adb, v179
	v_fmamk_f32 v69, v43, 0xbf1a4643, v68
	s_delay_alu instid0(VALU_DEP_1) | instskip(NEXT) | instid1(VALU_DEP_1)
	v_dual_add_f32 v56, v69, v56 :: v_dual_mul_f32 v69, 0xbf1a4643, v177
	v_fmamk_f32 v70, v171, 0xbf4c4adb, v69
	s_delay_alu instid0(VALU_DEP_1) | instskip(NEXT) | instid1(VALU_DEP_1)
	v_dual_add_f32 v55, v70, v55 :: v_dual_mul_f32 v70, 0xbeb8f4ab, v178
	v_fmamk_f32 v71, v37, 0x3f6eb680, v70
	s_delay_alu instid0(VALU_DEP_1) | instskip(SKIP_2) | instid1(VALU_DEP_2)
	v_add_f32_e32 v56, v71, v56
	v_mul_f32_e32 v71, 0x3f6eb680, v176
	v_fmac_f32_e32 v69, 0x3f4c4adb, v171
	v_fmamk_f32 v72, v36, 0x3eb8f4ab, v71
	s_delay_alu instid0(VALU_DEP_1) | instskip(SKIP_1) | instid1(VALU_DEP_1)
	v_add_f32_e32 v55, v72, v55
	v_mul_f32_e32 v72, 0xbe3c28d5, v167
	v_fmamk_f32 v73, v162, 0xbf7ba420, v72
	s_delay_alu instid0(VALU_DEP_1) | instskip(SKIP_1) | instid1(VALU_DEP_2)
	v_dual_add_f32 v56, v73, v56 :: v_dual_mul_f32 v73, 0xbf7ba420, v41
	v_mul_f32_e32 v41, 0x3ee437d1, v41
	v_fmamk_f32 v74, v40, 0x3e3c28d5, v73
	s_delay_alu instid0(VALU_DEP_1) | instskip(NEXT) | instid1(VALU_DEP_1)
	v_dual_add_f32 v55, v74, v55 :: v_dual_mul_f32 v74, 0x3f2c7751, v174
	v_fmamk_f32 v75, v170, 0x3f3d2fb0, v74
	s_delay_alu instid0(VALU_DEP_1) | instskip(NEXT) | instid1(VALU_DEP_1)
	v_dual_add_f32 v56, v75, v56 :: v_dual_mul_f32 v75, 0x3f3d2fb0, v175
	v_fmamk_f32 v76, v42, 0xbf2c7751, v75
	s_delay_alu instid0(VALU_DEP_1) | instskip(SKIP_1) | instid1(VALU_DEP_2)
	v_dual_add_f32 v76, v76, v55 :: v_dual_fmamk_f32 v55, v187, 0xbe8c1d8e, v77
	v_fmac_f32_e32 v67, 0xbf7ee86f, v173
	v_dual_add_f32 v55, v55, v56 :: v_dual_fmamk_f32 v56, v186, 0x3f763a35, v78
	v_fmac_f32_e32 v78, 0xbf763a35, v186
	s_delay_alu instid0(VALU_DEP_2) | instskip(SKIP_1) | instid1(VALU_DEP_1)
	v_add_f32_e32 v56, v56, v76
	v_mul_f32_e32 v76, 0x3eb8f4ab, v183
	v_fmamk_f32 v139, v38, 0x3f6eb680, v76
	v_fma_f32 v76, 0x3f6eb680, v38, -v76
	v_fma_f32 v38, 0x3ee437d1, v38, -v63
	s_delay_alu instid0(VALU_DEP_2) | instskip(NEXT) | instid1(VALU_DEP_4)
	v_add_f32_e32 v52, v76, v52
	v_dual_add_f32 v54, v139, v54 :: v_dual_mul_f32 v139, 0x3f6eb680, v181
	s_delay_alu instid0(VALU_DEP_3) | instskip(SKIP_1) | instid1(VALU_DEP_3)
	v_add_f32_e32 v38, v38, v46
	v_dual_add_f32 v46, v65, v47 :: v_dual_fmac_f32 v71, 0xbeb8f4ab, v36
	v_fmamk_f32 v142, v39, 0xbeb8f4ab, v139
	s_delay_alu instid0(VALU_DEP_1) | instskip(SKIP_2) | instid1(VALU_DEP_1)
	v_dual_add_f32 v46, v67, v46 :: v_dual_add_f32 v53, v142, v53
	v_mul_f32_e32 v142, 0xbf06c442, v182
	v_fma_f32 v63, 0x3dbcf732, v172, -v66
	v_dual_fmamk_f32 v147, v172, 0xbf59a7d5, v142 :: v_dual_add_f32 v38, v63, v38
	s_delay_alu instid0(VALU_DEP_1) | instskip(SKIP_1) | instid1(VALU_DEP_2)
	v_dual_add_f32 v54, v147, v54 :: v_dual_mul_f32 v147, 0xbf59a7d5, v180
	v_fmac_f32_e32 v73, 0xbe3c28d5, v40
	v_fmamk_f32 v148, v173, 0x3f06c442, v147
	v_fmac_f32_e32 v147, 0xbf06c442, v173
	s_delay_alu instid0(VALU_DEP_2) | instskip(NEXT) | instid1(VALU_DEP_1)
	v_dual_add_f32 v53, v148, v53 :: v_dual_mul_f32 v148, 0x3f2c7751, v179
	v_fmamk_f32 v149, v43, 0x3f3d2fb0, v148
	s_delay_alu instid0(VALU_DEP_1) | instskip(NEXT) | instid1(VALU_DEP_1)
	v_dual_add_f32 v54, v149, v54 :: v_dual_mul_f32 v149, 0x3f3d2fb0, v177
	v_fmamk_f32 v150, v171, 0xbf2c7751, v149
	v_fmac_f32_e32 v149, 0x3f2c7751, v171
	s_delay_alu instid0(VALU_DEP_2) | instskip(NEXT) | instid1(VALU_DEP_1)
	v_dual_add_f32 v53, v150, v53 :: v_dual_mul_f32 v150, 0xbf4c4adb, v178
	v_fmamk_f32 v151, v37, 0xbf1a4643, v150
	s_delay_alu instid0(VALU_DEP_1) | instskip(SKIP_1) | instid1(VALU_DEP_2)
	v_dual_add_f32 v54, v151, v54 :: v_dual_mul_f32 v151, 0xbf1a4643, v176
	v_fmac_f32_e32 v75, 0x3f2c7751, v42
	v_fmamk_f32 v152, v36, 0x3f4c4adb, v151
	s_delay_alu instid0(VALU_DEP_1) | instskip(NEXT) | instid1(VALU_DEP_1)
	v_dual_add_f32 v53, v152, v53 :: v_dual_mul_f32 v152, 0x3f65296c, v167
	v_fmamk_f32 v153, v162, 0x3ee437d1, v152
	s_delay_alu instid0(VALU_DEP_1) | instskip(NEXT) | instid1(VALU_DEP_1)
	v_dual_add_f32 v54, v153, v54 :: v_dual_fmamk_f32 v153, v40, 0xbf65296c, v41
	v_add_f32_e32 v53, v153, v53
	v_mul_f32_e32 v153, 0xbf763a35, v174
	s_delay_alu instid0(VALU_DEP_1) | instskip(NEXT) | instid1(VALU_DEP_1)
	v_fmamk_f32 v154, v170, 0xbe8c1d8e, v153
	v_dual_add_f32 v54, v154, v54 :: v_dual_fmac_f32 v139, 0x3eb8f4ab, v39
	v_fma_f32 v39, 0xbf59a7d5, v172, -v142
	v_mul_f32_e32 v154, 0xbe8c1d8e, v175
	s_delay_alu instid0(VALU_DEP_3) | instskip(NEXT) | instid1(VALU_DEP_3)
	v_add_f32_e32 v51, v139, v51
	v_add_f32_e32 v39, v39, v52
	s_delay_alu instid0(VALU_DEP_2) | instskip(SKIP_2) | instid1(VALU_DEP_3)
	v_add_f32_e32 v47, v147, v51
	v_fma_f32 v51, 0x3f3d2fb0, v43, -v148
	v_fma_f32 v43, 0xbf1a4643, v43, -v68
	v_add_f32_e32 v47, v149, v47
	s_delay_alu instid0(VALU_DEP_3) | instskip(NEXT) | instid1(VALU_DEP_3)
	v_add_f32_e32 v39, v51, v39
	v_add_f32_e32 v38, v43, v38
	;; [unrolled: 1-line block ×3, first 2 shown]
	v_fmac_f32_e32 v151, 0xbf4c4adb, v36
	v_fma_f32 v46, 0xbf1a4643, v37, -v150
	v_fma_f32 v37, 0x3f6eb680, v37, -v70
	s_delay_alu instid0(VALU_DEP_2) | instskip(NEXT) | instid1(VALU_DEP_4)
	v_add_f32_e32 v36, v46, v39
	v_add_f32_e32 v39, v151, v47
	v_fmac_f32_e32 v41, 0x3f65296c, v40
	s_delay_alu instid0(VALU_DEP_4) | instskip(SKIP_1) | instid1(VALU_DEP_3)
	v_dual_add_f32 v37, v37, v38 :: v_dual_add_f32 v38, v71, v43
	v_fmamk_f32 v155, v42, 0x3f763a35, v154
	v_dual_fmac_f32 v154, 0xbf763a35, v42 :: v_dual_add_f32 v39, v41, v39
	v_mul_f32_e32 v156, 0x3f7ee86f, v188
	s_delay_alu instid0(VALU_DEP_3) | instskip(SKIP_1) | instid1(VALU_DEP_4)
	v_dual_add_f32 v38, v73, v38 :: v_dual_add_f32 v155, v155, v53
	v_fma_f32 v41, 0x3f3d2fb0, v170, -v74
	v_add_f32_e32 v39, v154, v39
	s_delay_alu instid0(VALU_DEP_4) | instskip(SKIP_2) | instid1(VALU_DEP_3)
	v_fmamk_f32 v53, v187, 0x3dbcf732, v156
	v_fma_f32 v43, 0x3ee437d1, v162, -v152
	v_fma_f32 v40, 0xbe8c1d8e, v170, -v153
	v_add_f32_e32 v53, v53, v54
	v_fma_f32 v46, 0xbf7ba420, v162, -v72
	s_delay_alu instid0(VALU_DEP_1) | instskip(NEXT) | instid1(VALU_DEP_1)
	v_dual_add_f32 v36, v43, v36 :: v_dual_add_f32 v37, v46, v37
	v_add_f32_e32 v36, v40, v36
	s_delay_alu instid0(VALU_DEP_2) | instskip(SKIP_4) | instid1(VALU_DEP_4)
	v_add_f32_e32 v40, v41, v37
	v_fma_f32 v37, 0x3dbcf732, v187, -v156
	v_mul_f32_e32 v157, 0x3dbcf732, v189
	v_add_f32_e32 v41, v75, v38
	v_fma_f32 v38, 0xbe8c1d8e, v187, -v77
	v_add_f32_e32 v36, v37, v36
	s_delay_alu instid0(VALU_DEP_4) | instskip(NEXT) | instid1(VALU_DEP_3)
	v_fmamk_f32 v54, v186, 0xbf7ee86f, v157
	v_dual_fmac_f32 v157, 0x3f7ee86f, v186 :: v_dual_add_f32 v38, v38, v40
	s_delay_alu instid0(VALU_DEP_1) | instskip(NEXT) | instid1(VALU_DEP_3)
	v_add_f32_e32 v37, v157, v39
	v_add_f32_e32 v54, v54, v155
	;; [unrolled: 1-line block ×3, first 2 shown]
	ds_store_2addr_b64 v146, v[32:33], v[34:35] offset1:1
	ds_store_2addr_b64 v146, v[44:45], v[163:164] offset0:2 offset1:3
	ds_store_2addr_b64 v146, v[168:169], v[184:185] offset0:4 offset1:5
	;; [unrolled: 1-line block ×7, first 2 shown]
	ds_store_b64 v146, v[137:138] offset:128
	v_add_nc_u32_e32 v36, 0x1400, v144
	global_wb scope:SCOPE_SE
	s_wait_dscnt 0x0
	s_barrier_signal -1
	s_barrier_wait -1
	global_inv scope:SCOPE_SE
	ds_load_2addr_b64 v[44:47], v144 offset1:68
	ds_load_2addr_b64 v[56:59], v49 offset0:66 offset1:134
	ds_load_2addr_b64 v[32:35], v144 offset0:136 offset1:204
	v_add_nc_u32_e32 v49, 0x1c00, v144
	ds_load_2addr_b64 v[60:63], v36 offset0:74 offset1:142
	ds_load_2addr_b64 v[40:43], v48 offset0:16 offset1:84
	;; [unrolled: 1-line block ×5, first 2 shown]
	s_and_saveexec_b32 s0, vcc_lo
	s_cbranch_execz .LBB0_11
; %bb.10:
	ds_load_b64 v[137:138], v144 offset:4352
	ds_load_b64 v[135:136], v144 offset:8976
.LBB0_11:
	s_wait_alu 0xfffe
	s_or_b32 exec_lo, exec_lo, s0
	s_wait_dscnt 0x6
	v_dual_mul_f32 v65, v106, v57 :: v_dual_mul_f32 v68, v104, v58
	v_dual_mul_f32 v66, v106, v56 :: v_dual_mul_f32 v67, v104, v59
	global_wb scope:SCOPE_SE
	s_wait_dscnt 0x0
	v_fmac_f32_e32 v65, v105, v56
	s_barrier_signal -1
	v_fma_f32 v56, v105, v57, -v66
	v_dual_mul_f32 v66, v100, v63 :: v_dual_fmac_f32 v67, v103, v58
	v_mul_f32_e32 v57, v102, v61
	v_fma_f32 v58, v103, v59, -v68
	v_dual_mul_f32 v68, v100, v62 :: v_dual_mul_f32 v59, v102, v60
	s_delay_alu instid0(VALU_DEP_4) | instskip(SKIP_2) | instid1(VALU_DEP_4)
	v_fmac_f32_e32 v66, v99, v62
	v_mul_f32_e32 v62, v116, v52
	v_dual_fmac_f32 v57, v101, v60 :: v_dual_mul_f32 v60, v116, v53
	v_fma_f32 v59, v101, v61, -v59
	v_fma_f32 v61, v99, v63, -v68
	v_mul_f32_e32 v63, v114, v55
	v_fma_f32 v62, v115, v53, -v62
	v_dual_mul_f32 v53, v112, v48 :: v_dual_mul_f32 v70, v110, v51
	v_mul_f32_e32 v68, v112, v49
	s_barrier_wait -1
	global_inv scope:SCOPE_SE
	v_fma_f32 v71, v111, v49, -v53
	v_dual_mul_f32 v49, v110, v50 :: v_dual_fmac_f32 v68, v111, v48
	v_dual_sub_f32 v53, v33, v59 :: v_dual_sub_f32 v48, v44, v65
	v_sub_f32_e32 v59, v41, v62
	s_delay_alu instid0(VALU_DEP_3) | instskip(SKIP_2) | instid1(VALU_DEP_3)
	v_fma_f32 v65, v109, v51, -v49
	v_dual_fmac_f32 v60, v115, v52 :: v_dual_fmac_f32 v63, v113, v54
	v_dual_mul_f32 v52, v114, v54 :: v_dual_sub_f32 v49, v45, v56
	v_sub_f32_e32 v100, v39, v65
	scratch_load_b32 v65, off, off offset:84 th:TH_LOAD_LU ; 4-byte Folded Reload
	v_fma_f32 v44, v44, 2.0, -v48
	v_fma_f32 v69, v113, v55, -v52
	v_mul_f32_e32 v52, v108, v135
	v_fma_f32 v45, v45, 2.0, -v49
	v_dual_mul_f32 v72, v108, v136 :: v_dual_sub_f32 v51, v47, v58
	v_fmac_f32_e32 v70, v109, v50
	v_sub_f32_e32 v50, v46, v67
	v_fma_f32 v73, v107, v136, -v52
	v_sub_f32_e32 v52, v32, v57
	v_fma_f32 v47, v47, 2.0, -v51
	v_sub_f32_e32 v57, v35, v61
	v_sub_f32_e32 v61, v43, v69
	v_fma_f32 v46, v46, 2.0, -v50
	v_fma_f32 v55, v33, 2.0, -v53
	v_dual_sub_f32 v58, v40, v60 :: v_dual_sub_f32 v33, v138, v73
	v_sub_f32_e32 v60, v42, v63
	v_sub_f32_e32 v63, v37, v71
	v_fma_f32 v54, v32, 2.0, -v52
	v_sub_f32_e32 v56, v34, v66
	v_fma_f32 v35, v35, 2.0, -v57
	v_fma_f32 v40, v40, 2.0, -v58
	;; [unrolled: 1-line block ×6, first 2 shown]
	v_sub_f32_e32 v62, v36, v68
	v_fma_f32 v37, v37, 2.0, -v63
	v_dual_fmac_f32 v72, v107, v135 :: v_dual_sub_f32 v99, v38, v70
	v_fma_f32 v39, v39, 2.0, -v100
	s_delay_alu instid0(VALU_DEP_4) | instskip(NEXT) | instid1(VALU_DEP_3)
	v_fma_f32 v36, v36, 2.0, -v62
	v_sub_f32_e32 v32, v137, v72
	s_delay_alu instid0(VALU_DEP_4)
	v_fma_f32 v38, v38, 2.0, -v99
	s_wait_loadcnt 0x0
	ds_store_2addr_b64 v65, v[44:45], v[48:49] offset1:17
	scratch_load_b32 v44, off, off offset:92 th:TH_LOAD_LU ; 4-byte Folded Reload
	s_wait_loadcnt 0x0
	ds_store_2addr_b64 v44, v[46:47], v[50:51] offset1:17
	scratch_load_b32 v44, off, off offset:88 th:TH_LOAD_LU ; 4-byte Folded Reload
	;; [unrolled: 3-line block ×7, first 2 shown]
	s_wait_loadcnt 0x0
	ds_store_2addr_b64 v34, v[38:39], v[99:100] offset1:17
	s_and_saveexec_b32 s0, vcc_lo
	s_cbranch_execz .LBB0_13
; %bb.12:
	s_clause 0x1
	scratch_load_b32 v34, off, off offset:56 th:TH_LOAD_LU
	scratch_load_b32 v35, off, off offset:60 th:TH_LOAD_LU
	s_wait_loadcnt 0x0
	v_mad_u16 v34, v34, 34, v35
	v_fma_f32 v35, v138, 2.0, -v33
	s_delay_alu instid0(VALU_DEP_2) | instskip(SKIP_1) | instid1(VALU_DEP_2)
	v_and_b32_e32 v36, 0xffff, v34
	v_fma_f32 v34, v137, 2.0, -v32
	v_lshl_add_u32 v36, v36, 3, v145
	ds_store_2addr_b64 v36, v[34:35], v[32:33] offset1:17
.LBB0_13:
	s_wait_alu 0xfffe
	s_or_b32 exec_lo, exec_lo, s0
	global_wb scope:SCOPE_SE
	s_wait_dscnt 0x0
	s_barrier_signal -1
	s_barrier_wait -1
	global_inv scope:SCOPE_SE
	ds_load_2addr_b64 v[39:42], v144 offset1:68
	ds_load_2addr_b64 v[43:46], v144 offset0:136 offset1:204
	v_add_nc_u32_e32 v36, 0x800, v144
	s_wait_dscnt 0x1
	v_dual_mul_f32 v35, v1, v42 :: v_dual_add_nc_u32 v38, 0x1000, v144
	v_mul_f32_e32 v1, v1, v41
	ds_load_2addr_b64 v[47:50], v36 offset0:16 offset1:84
	s_wait_dscnt 0x1
	v_mul_f32_e32 v65, v29, v46
	v_mul_f32_e32 v63, v3, v44
	s_wait_dscnt 0x0
	v_mul_f32_e32 v34, v31, v48
	s_delay_alu instid0(VALU_DEP_1)
	v_dual_fmac_f32 v34, v30, v47 :: v_dual_add_nc_u32 v37, 0x1800, v144
	ds_load_b64 v[107:108], v144 offset:8704
	ds_load_2addr_b64 v[51:54], v36 offset0:152 offset1:220
	ds_load_2addr_b64 v[55:58], v38 offset0:32 offset1:100
	;; [unrolled: 1-line block ×5, first 2 shown]
	v_mul_f32_e32 v3, v3, v43
	v_mul_f32_e32 v29, v29, v45
	v_fmac_f32_e32 v35, v0, v41
	v_fma_f32 v0, v0, v42, -v1
	v_fmac_f32_e32 v63, v2, v43
	v_fma_f32 v41, v2, v44, -v3
	v_dual_mul_f32 v1, v31, v47 :: v_dual_mul_f32 v2, v25, v49
	v_fmac_f32_e32 v65, v28, v45
	v_fma_f32 v42, v28, v46, -v29
	v_add_f32_e32 v3, v40, v0
	v_mul_f32_e32 v29, v25, v50
	v_fma_f32 v30, v30, v48, -v1
	global_wb scope:SCOPE_SE
	s_wait_dscnt 0x0
	s_barrier_signal -1
	v_mul_f32_e32 v28, v27, v52
	v_mul_f32_e32 v1, v27, v51
	v_fma_f32 v27, v24, v50, -v2
	v_mul_f32_e32 v2, v5, v53
	s_barrier_wait -1
	v_fmac_f32_e32 v28, v26, v51
	global_inv scope:SCOPE_SE
	v_fma_f32 v25, v4, v54, -v2
	v_dual_mul_f32 v2, v7, v56 :: v_dual_fmac_f32 v29, v24, v49
	v_dual_mul_f32 v24, v5, v54 :: v_dual_mul_f32 v5, v7, v55
	s_delay_alu instid0(VALU_DEP_2) | instskip(NEXT) | instid1(VALU_DEP_2)
	v_fmac_f32_e32 v2, v6, v55
	v_fmac_f32_e32 v24, v4, v53
	v_dual_add_f32 v4, v3, v41 :: v_dual_mul_f32 v3, v17, v58
	s_delay_alu instid0(VALU_DEP_1) | instskip(SKIP_2) | instid1(VALU_DEP_4)
	v_add_f32_e32 v7, v4, v42
	v_fma_f32 v4, v6, v56, -v5
	v_dual_mul_f32 v5, v17, v57 :: v_dual_mul_f32 v6, v19, v60
	v_fmac_f32_e32 v3, v16, v57
	s_delay_alu instid0(VALU_DEP_4) | instskip(SKIP_1) | instid1(VALU_DEP_4)
	v_add_f32_e32 v7, v7, v30
	v_mul_f32_e32 v17, v19, v59
	v_fma_f32 v5, v16, v58, -v5
	v_mul_f32_e32 v16, v9, v62
	v_fma_f32 v26, v26, v52, -v1
	v_add_f32_e32 v19, v7, v27
	v_fma_f32 v7, v18, v60, -v17
	v_add_f32_e32 v1, v39, v35
	v_fmac_f32_e32 v6, v18, v59
	s_delay_alu instid0(VALU_DEP_4) | instskip(SKIP_1) | instid1(VALU_DEP_4)
	v_dual_mul_f32 v18, v9, v61 :: v_dual_add_f32 v17, v19, v26
	v_mul_f32_e32 v9, v11, v100
	v_dual_add_f32 v1, v1, v63 :: v_dual_fmac_f32 v16, v8, v61
	s_delay_alu instid0(VALU_DEP_3) | instskip(NEXT) | instid1(VALU_DEP_4)
	v_fma_f32 v8, v8, v62, -v18
	v_add_f32_e32 v17, v17, v25
	v_dual_mul_f32 v11, v11, v99 :: v_dual_mul_f32 v18, v21, v102
	v_mul_f32_e32 v19, v21, v101
	v_add_f32_e32 v1, v1, v65
	s_delay_alu instid0(VALU_DEP_4) | instskip(SKIP_3) | instid1(VALU_DEP_4)
	v_add_f32_e32 v17, v17, v4
	v_fmac_f32_e32 v9, v10, v99
	v_fma_f32 v10, v10, v100, -v11
	v_dual_fmac_f32 v18, v20, v101 :: v_dual_mul_f32 v21, v13, v106
	v_add_f32_e32 v11, v17, v5
	v_fma_f32 v17, v20, v102, -v19
	v_mul_f32_e32 v19, v23, v104
	v_dual_mul_f32 v20, v23, v103 :: v_dual_add_f32 v1, v1, v34
	v_mul_f32_e32 v13, v13, v105
	v_fmac_f32_e32 v21, v12, v105
	s_delay_alu instid0(VALU_DEP_4) | instskip(NEXT) | instid1(VALU_DEP_4)
	v_fmac_f32_e32 v19, v22, v103
	v_fma_f32 v20, v22, v104, -v20
	v_mul_f32_e32 v22, v15, v107
	v_mul_f32_e32 v15, v15, v108
	v_fma_f32 v12, v12, v106, -v13
	s_delay_alu instid0(VALU_DEP_3) | instskip(NEXT) | instid1(VALU_DEP_3)
	v_fma_f32 v22, v14, v108, -v22
	v_fmac_f32_e32 v15, v14, v107
	s_delay_alu instid0(VALU_DEP_3) | instskip(NEXT) | instid1(VALU_DEP_2)
	v_sub_f32_e32 v71, v41, v12
	v_dual_sub_f32 v13, v0, v22 :: v_dual_add_f32 v14, v35, v15
	v_add_f32_e32 v1, v1, v29
	s_delay_alu instid0(VALU_DEP_2) | instskip(NEXT) | instid1(VALU_DEP_2)
	v_dual_add_f32 v23, v0, v22 :: v_dual_mul_f32 v46, 0xbf65296c, v13
	v_dual_mul_f32 v54, 0xbf763a35, v13 :: v_dual_add_f32 v1, v1, v28
	s_delay_alu instid0(VALU_DEP_2) | instskip(SKIP_2) | instid1(VALU_DEP_4)
	v_mul_f32_e32 v48, 0x3ee437d1, v23
	v_mul_f32_e32 v52, 0x3dbcf732, v23
	;; [unrolled: 1-line block ×3, first 2 shown]
	v_dual_fmamk_f32 v56, v14, 0xbe8c1d8e, v54 :: v_dual_add_f32 v1, v1, v24
	v_add_f32_e32 v11, v11, v7
	v_mul_f32_e32 v60, 0xbf1a4643, v23
	v_fma_f32 v54, 0xbe8c1d8e, v14, -v54
	v_mul_f32_e32 v67, 0xbf59a7d5, v23
	v_add_f32_e32 v1, v1, v2
	v_dual_add_f32 v11, v11, v8 :: v_dual_fmamk_f32 v68, v14, 0xbf59a7d5, v66
	s_delay_alu instid0(VALU_DEP_4) | instskip(SKIP_1) | instid1(VALU_DEP_4)
	v_add_f32_e32 v54, v39, v54
	v_fma_f32 v66, 0xbf59a7d5, v14, -v66
	v_add_f32_e32 v1, v1, v3
	s_delay_alu instid0(VALU_DEP_4) | instskip(SKIP_2) | instid1(VALU_DEP_4)
	v_add_f32_e32 v11, v11, v10
	v_dual_add_f32 v68, v39, v68 :: v_dual_mul_f32 v45, 0x3f3d2fb0, v23
	v_fmamk_f32 v49, v14, 0x3ee437d1, v46
	v_add_f32_e32 v1, v1, v6
	s_delay_alu instid0(VALU_DEP_4)
	v_add_f32_e32 v11, v11, v17
	v_add_f32_e32 v66, v39, v66
	;; [unrolled: 1-line block ×3, first 2 shown]
	v_fma_f32 v46, 0x3ee437d1, v14, -v46
	v_add_f32_e32 v1, v1, v16
	v_add_f32_e32 v11, v11, v20
	s_delay_alu instid0(VALU_DEP_2) | instskip(NEXT) | instid1(VALU_DEP_1)
	v_dual_add_f32 v46, v39, v46 :: v_dual_add_f32 v1, v1, v9
	v_add_f32_e32 v1, v1, v18
	s_delay_alu instid0(VALU_DEP_1) | instskip(NEXT) | instid1(VALU_DEP_1)
	v_add_f32_e32 v1, v1, v19
	v_dual_add_f32 v0, v1, v21 :: v_dual_add_f32 v1, v11, v12
	v_dual_add_f32 v12, v41, v12 :: v_dual_sub_f32 v11, v35, v15
	v_mul_f32_e32 v35, 0x3f6eb680, v23
	s_delay_alu instid0(VALU_DEP_3) | instskip(SKIP_1) | instid1(VALU_DEP_4)
	v_dual_add_f32 v0, v0, v15 :: v_dual_add_f32 v1, v1, v22
	v_mul_f32_e32 v41, 0xbf2c7751, v71
	v_fmamk_f32 v69, v11, 0x3f06c442, v67
	v_fmamk_f32 v50, v11, 0x3f65296c, v48
	v_fmac_f32_e32 v48, 0xbf65296c, v11
	v_fmamk_f32 v62, v11, 0x3f4c4adb, v60
	s_delay_alu instid0(VALU_DEP_4) | instskip(SKIP_1) | instid1(VALU_DEP_4)
	v_dual_fmac_f32 v60, 0xbf4c4adb, v11 :: v_dual_add_f32 v69, v40, v69
	v_mul_f32_e32 v57, 0xbe8c1d8e, v23
	v_dual_mul_f32 v23, 0xbf7ba420, v23 :: v_dual_add_f32 v48, v40, v48
	s_delay_alu instid0(VALU_DEP_3) | instskip(SKIP_1) | instid1(VALU_DEP_3)
	v_dual_fmamk_f32 v55, v11, 0x3f7ee86f, v52 :: v_dual_add_f32 v60, v40, v60
	v_fmamk_f32 v22, v11, 0x3eb8f4ab, v35
	v_fmamk_f32 v72, v11, 0x3e3c28d5, v23
	v_mul_f32_e32 v31, 0xbeb8f4ab, v13
	v_mul_f32_e32 v15, 0xbf2c7751, v13
	;; [unrolled: 1-line block ×5, first 2 shown]
	v_add_f32_e32 v55, v40, v55
	v_fmamk_f32 v47, v11, 0x3f2c7751, v45
	v_fmac_f32_e32 v45, 0xbf2c7751, v11
	v_fmac_f32_e32 v23, 0xbe3c28d5, v11
	v_fmamk_f32 v70, v14, 0xbf7ba420, v13
	v_fmamk_f32 v44, v14, 0x3f3d2fb0, v15
	v_fma_f32 v15, 0x3f3d2fb0, v14, -v15
	v_dual_add_f32 v45, v40, v45 :: v_dual_fmac_f32 v52, 0xbf7ee86f, v11
	v_fmamk_f32 v59, v11, 0x3f763a35, v57
	v_fmac_f32_e32 v57, 0xbf763a35, v11
	v_fmamk_f32 v61, v14, 0xbf1a4643, v58
	v_fma_f32 v58, 0xbf1a4643, v14, -v58
	v_dual_fmac_f32 v67, 0xbf06c442, v11 :: v_dual_add_f32 v70, v39, v70
	v_fmamk_f32 v43, v14, 0x3f6eb680, v31
	v_fma_f32 v31, 0x3f6eb680, v14, -v31
	v_fma_f32 v13, 0xbf7ba420, v14, -v13
	v_add_f32_e32 v23, v40, v23
	v_fmamk_f32 v53, v14, 0x3dbcf732, v51
	v_fma_f32 v51, 0x3dbcf732, v14, -v51
	v_add_f32_e32 v14, v63, v21
	v_add_f32_e32 v49, v39, v49
	v_fmac_f32_e32 v35, 0xbeb8f4ab, v11
	v_sub_f32_e32 v11, v63, v21
	v_mul_f32_e32 v21, 0x3f3d2fb0, v12
	v_dual_add_f32 v43, v39, v43 :: v_dual_add_f32 v22, v40, v22
	v_add_f32_e32 v31, v39, v31
	v_dual_add_f32 v35, v40, v35 :: v_dual_add_f32 v44, v39, v44
	v_add_f32_e32 v47, v40, v47
	v_dual_add_f32 v50, v40, v50 :: v_dual_add_f32 v53, v39, v53
	v_dual_add_f32 v51, v39, v51 :: v_dual_add_f32 v52, v40, v52
	v_add_f32_e32 v59, v40, v59
	v_add_f32_e32 v57, v40, v57
	;; [unrolled: 1-line block ×3, first 2 shown]
	v_dual_add_f32 v15, v39, v15 :: v_dual_add_f32 v62, v40, v62
	v_dual_add_f32 v58, v39, v58 :: v_dual_add_f32 v67, v40, v67
	v_add_f32_e32 v63, v40, v72
	v_add_f32_e32 v13, v39, v13
	v_fmamk_f32 v39, v11, 0x3f2c7751, v21
	v_mul_f32_e32 v40, 0xbf7ee86f, v71
	v_fmac_f32_e32 v21, 0xbf2c7751, v11
	v_fmamk_f32 v72, v14, 0x3f3d2fb0, v41
	v_fma_f32 v41, 0x3f3d2fb0, v14, -v41
	s_delay_alu instid0(VALU_DEP_4) | instskip(NEXT) | instid1(VALU_DEP_4)
	v_dual_add_f32 v22, v39, v22 :: v_dual_fmamk_f32 v39, v14, 0x3dbcf732, v40
	v_add_f32_e32 v21, v21, v35
	v_mul_f32_e32 v35, 0xbf4c4adb, v71
	s_delay_alu instid0(VALU_DEP_4) | instskip(SKIP_2) | instid1(VALU_DEP_4)
	v_add_f32_e32 v31, v41, v31
	v_fma_f32 v40, 0x3dbcf732, v14, -v40
	v_add_f32_e32 v39, v39, v44
	v_dual_mul_f32 v73, 0xbf1a4643, v12 :: v_dual_fmamk_f32 v44, v14, 0xbf1a4643, v35
	v_dual_add_f32 v43, v72, v43 :: v_dual_mul_f32 v72, 0x3dbcf732, v12
	s_delay_alu instid0(VALU_DEP_4) | instskip(SKIP_1) | instid1(VALU_DEP_4)
	v_add_f32_e32 v15, v40, v15
	v_fma_f32 v35, 0xbf1a4643, v14, -v35
	v_dual_add_f32 v44, v44, v49 :: v_dual_mul_f32 v49, 0xbf7ba420, v12
	s_delay_alu instid0(VALU_DEP_4) | instskip(NEXT) | instid1(VALU_DEP_3)
	v_fmamk_f32 v41, v11, 0x3f7ee86f, v72
	v_dual_fmac_f32 v72, 0xbf7ee86f, v11 :: v_dual_add_f32 v35, v35, v46
	s_delay_alu instid0(VALU_DEP_1) | instskip(SKIP_3) | instid1(VALU_DEP_3)
	v_dual_add_f32 v41, v41, v47 :: v_dual_add_f32 v40, v72, v45
	v_fmamk_f32 v45, v11, 0x3f4c4adb, v73
	v_mul_f32_e32 v47, 0xbe3c28d5, v71
	v_fmac_f32_e32 v73, 0xbf4c4adb, v11
	v_dual_mul_f32 v72, 0x3f06c442, v71 :: v_dual_add_f32 v45, v45, v50
	s_delay_alu instid0(VALU_DEP_3) | instskip(SKIP_1) | instid1(VALU_DEP_4)
	v_fmamk_f32 v50, v14, 0xbf7ba420, v47
	v_fma_f32 v47, 0xbf7ba420, v14, -v47
	v_add_f32_e32 v46, v73, v48
	v_fmamk_f32 v48, v11, 0x3e3c28d5, v49
	s_delay_alu instid0(VALU_DEP_4) | instskip(SKIP_3) | instid1(VALU_DEP_4)
	v_dual_fmac_f32 v49, 0xbe3c28d5, v11 :: v_dual_add_f32 v50, v50, v53
	v_fmamk_f32 v53, v14, 0xbf59a7d5, v72
	v_add_f32_e32 v47, v47, v51
	v_mul_f32_e32 v51, 0x3f763a35, v71
	v_add_f32_e32 v49, v49, v52
	v_mul_f32_e32 v73, 0xbe8c1d8e, v12
	v_add_f32_e32 v52, v53, v56
	v_fma_f32 v56, 0xbf59a7d5, v14, -v72
	v_fmamk_f32 v72, v14, 0xbe8c1d8e, v51
	v_fma_f32 v51, 0xbe8c1d8e, v14, -v51
	s_delay_alu instid0(VALU_DEP_3) | instskip(NEXT) | instid1(VALU_DEP_3)
	v_add_f32_e32 v54, v56, v54
	v_dual_add_f32 v56, v72, v61 :: v_dual_mul_f32 v61, 0x3ee437d1, v12
	s_delay_alu instid0(VALU_DEP_3) | instskip(NEXT) | instid1(VALU_DEP_2)
	v_add_f32_e32 v51, v51, v58
	v_fmamk_f32 v58, v11, 0xbf65296c, v61
	v_dual_add_f32 v48, v48, v55 :: v_dual_mul_f32 v55, 0xbf59a7d5, v12
	v_fmac_f32_e32 v61, 0x3f65296c, v11
	v_mul_f32_e32 v12, 0x3f6eb680, v12
	s_delay_alu instid0(VALU_DEP_3) | instskip(SKIP_1) | instid1(VALU_DEP_4)
	v_fmamk_f32 v53, v11, 0xbf06c442, v55
	v_fmac_f32_e32 v55, 0x3f06c442, v11
	v_add_f32_e32 v61, v61, v67
	s_delay_alu instid0(VALU_DEP_3) | instskip(NEXT) | instid1(VALU_DEP_3)
	v_add_f32_e32 v53, v53, v59
	v_add_f32_e32 v55, v55, v57
	v_fmamk_f32 v57, v11, 0xbf763a35, v73
	v_mul_f32_e32 v59, 0x3f65296c, v71
	v_mul_f32_e32 v71, 0x3eb8f4ab, v71
	v_fmac_f32_e32 v73, 0x3f763a35, v11
	s_delay_alu instid0(VALU_DEP_3) | instskip(SKIP_1) | instid1(VALU_DEP_3)
	v_dual_add_f32 v57, v57, v62 :: v_dual_fmamk_f32 v62, v14, 0x3ee437d1, v59
	v_fma_f32 v59, 0x3ee437d1, v14, -v59
	v_add_f32_e32 v60, v73, v60
	s_delay_alu instid0(VALU_DEP_3) | instskip(NEXT) | instid1(VALU_DEP_3)
	v_add_f32_e32 v62, v62, v68
	v_dual_fmamk_f32 v68, v14, 0x3f6eb680, v71 :: v_dual_add_f32 v59, v59, v66
	v_sub_f32_e32 v66, v42, v20
	v_add_f32_e32 v20, v42, v20
	v_fma_f32 v14, 0x3f6eb680, v14, -v71
	s_delay_alu instid0(VALU_DEP_4) | instskip(NEXT) | instid1(VALU_DEP_4)
	v_dual_add_f32 v67, v68, v70 :: v_dual_fmamk_f32 v68, v11, 0xbeb8f4ab, v12
	v_mul_f32_e32 v70, 0xbf65296c, v66
	s_delay_alu instid0(VALU_DEP_4)
	v_mul_f32_e32 v42, 0x3ee437d1, v20
	v_dual_add_f32 v58, v58, v69 :: v_dual_add_f32 v69, v65, v19
	v_fmac_f32_e32 v12, 0x3eb8f4ab, v11
	v_sub_f32_e32 v11, v65, v19
	v_add_f32_e32 v13, v14, v13
	v_mul_f32_e32 v65, 0xbf1a4643, v20
	v_fmamk_f32 v19, v69, 0x3ee437d1, v70
	s_delay_alu instid0(VALU_DEP_1) | instskip(SKIP_3) | instid1(VALU_DEP_3)
	v_add_f32_e32 v14, v19, v43
	v_fmamk_f32 v19, v11, 0x3f65296c, v42
	v_fmac_f32_e32 v42, 0xbf65296c, v11
	v_fma_f32 v43, 0x3ee437d1, v69, -v70
	v_add_f32_e32 v19, v19, v22
	s_delay_alu instid0(VALU_DEP_3)
	v_dual_add_f32 v21, v42, v21 :: v_dual_fmamk_f32 v42, v11, 0x3f4c4adb, v65
	v_dual_add_f32 v63, v68, v63 :: v_dual_mul_f32 v68, 0xbe8c1d8e, v20
	v_dual_add_f32 v12, v12, v23 :: v_dual_mul_f32 v23, 0xbf4c4adb, v66
	v_add_f32_e32 v31, v43, v31
	v_mul_f32_e32 v43, 0x3e3c28d5, v66
	v_fmac_f32_e32 v65, 0xbf4c4adb, v11
	s_delay_alu instid0(VALU_DEP_4) | instskip(SKIP_1) | instid1(VALU_DEP_2)
	v_fmamk_f32 v22, v69, 0xbf1a4643, v23
	v_fma_f32 v23, 0xbf1a4643, v69, -v23
	v_add_f32_e32 v22, v22, v39
	v_add_f32_e32 v39, v42, v41
	v_dual_fmamk_f32 v41, v69, 0xbf7ba420, v43 :: v_dual_mul_f32 v42, 0xbf7ba420, v20
	s_delay_alu instid0(VALU_DEP_4) | instskip(SKIP_1) | instid1(VALU_DEP_3)
	v_add_f32_e32 v15, v23, v15
	v_dual_add_f32 v23, v65, v40 :: v_dual_mul_f32 v40, 0x3f763a35, v66
	v_dual_add_f32 v41, v41, v44 :: v_dual_fmamk_f32 v44, v11, 0xbe3c28d5, v42
	v_fma_f32 v43, 0xbf7ba420, v69, -v43
	v_fmac_f32_e32 v42, 0x3e3c28d5, v11
	s_delay_alu instid0(VALU_DEP_4) | instskip(SKIP_1) | instid1(VALU_DEP_4)
	v_fmamk_f32 v65, v69, 0xbe8c1d8e, v40
	v_fma_f32 v40, 0xbe8c1d8e, v69, -v40
	v_dual_add_f32 v44, v44, v45 :: v_dual_add_f32 v35, v43, v35
	v_fmamk_f32 v45, v11, 0xbf763a35, v68
	s_delay_alu instid0(VALU_DEP_4)
	v_dual_add_f32 v43, v65, v50 :: v_dual_fmac_f32 v68, 0x3f763a35, v11
	v_mul_f32_e32 v50, 0x3f3d2fb0, v20
	v_add_f32_e32 v42, v42, v46
	v_mul_f32_e32 v46, 0x3f2c7751, v66
	v_add_f32_e32 v40, v40, v47
	v_add_f32_e32 v47, v68, v49
	v_fmamk_f32 v49, v11, 0xbf2c7751, v50
	v_add_f32_e32 v45, v45, v48
	v_fmamk_f32 v48, v69, 0x3f3d2fb0, v46
	v_mul_f32_e32 v65, 0xbeb8f4ab, v66
	v_fma_f32 v46, 0x3f3d2fb0, v69, -v46
	v_dual_fmac_f32 v50, 0x3f2c7751, v11 :: v_dual_add_f32 v49, v49, v53
	v_mul_f32_e32 v53, 0x3f6eb680, v20
	v_add_f32_e32 v48, v48, v52
	v_fmamk_f32 v52, v69, 0x3f6eb680, v65
	v_add_f32_e32 v46, v46, v54
	v_add_f32_e32 v50, v50, v55
	v_mul_f32_e32 v54, 0xbf7ee86f, v66
	v_fmamk_f32 v55, v11, 0x3eb8f4ab, v53
	v_mul_f32_e32 v68, 0x3dbcf732, v20
	v_add_f32_e32 v52, v52, v56
	v_fma_f32 v56, 0x3f6eb680, v69, -v65
	v_fmac_f32_e32 v53, 0xbeb8f4ab, v11
	v_fmamk_f32 v65, v69, 0x3dbcf732, v54
	v_add_f32_e32 v55, v55, v57
	v_fmamk_f32 v57, v11, 0x3f7ee86f, v68
	v_mul_f32_e32 v20, 0xbf59a7d5, v20
	v_fma_f32 v54, 0x3dbcf732, v69, -v54
	v_fmac_f32_e32 v68, 0xbf7ee86f, v11
	v_add_f32_e32 v51, v56, v51
	v_add_f32_e32 v53, v53, v60
	;; [unrolled: 1-line block ×3, first 2 shown]
	v_mul_f32_e32 v60, 0xbf06c442, v66
	v_fmamk_f32 v62, v11, 0x3f06c442, v20
	v_dual_add_f32 v54, v54, v59 :: v_dual_add_f32 v59, v68, v61
	v_sub_f32_e32 v61, v30, v17
	v_add_f32_e32 v17, v30, v17
	v_add_f32_e32 v57, v57, v58
	v_fmamk_f32 v58, v69, 0xbf59a7d5, v60
	v_add_f32_e32 v62, v62, v63
	v_dual_add_f32 v63, v34, v18 :: v_dual_mul_f32 v30, 0xbf7ee86f, v61
	v_fma_f32 v60, 0xbf59a7d5, v69, -v60
	v_dual_fmac_f32 v20, 0xbf06c442, v11 :: v_dual_sub_f32 v11, v34, v18
	v_mul_f32_e32 v18, 0x3dbcf732, v17
	s_delay_alu instid0(VALU_DEP_3) | instskip(NEXT) | instid1(VALU_DEP_3)
	v_dual_fmamk_f32 v34, v63, 0x3dbcf732, v30 :: v_dual_add_f32 v13, v60, v13
	v_add_f32_e32 v12, v20, v12
	v_mul_f32_e32 v20, 0xbe3c28d5, v61
	s_delay_alu instid0(VALU_DEP_4) | instskip(NEXT) | instid1(VALU_DEP_4)
	v_fmamk_f32 v60, v11, 0x3f7ee86f, v18
	v_add_f32_e32 v14, v34, v14
	v_fma_f32 v30, 0x3dbcf732, v63, -v30
	v_fmac_f32_e32 v18, 0xbf7ee86f, v11
	s_delay_alu instid0(VALU_DEP_4) | instskip(SKIP_1) | instid1(VALU_DEP_4)
	v_dual_fmamk_f32 v34, v63, 0xbf7ba420, v20 :: v_dual_add_f32 v19, v60, v19
	v_mul_f32_e32 v60, 0xbf7ba420, v17
	v_add_f32_e32 v30, v30, v31
	s_delay_alu instid0(VALU_DEP_4) | instskip(NEXT) | instid1(VALU_DEP_4)
	v_add_f32_e32 v18, v18, v21
	v_dual_add_f32 v21, v34, v22 :: v_dual_mul_f32 v22, 0x3f763a35, v61
	s_delay_alu instid0(VALU_DEP_4) | instskip(SKIP_2) | instid1(VALU_DEP_4)
	v_fmamk_f32 v31, v11, 0x3e3c28d5, v60
	v_fma_f32 v20, 0xbf7ba420, v63, -v20
	v_fmac_f32_e32 v60, 0xbe3c28d5, v11
	v_dual_mul_f32 v34, 0xbe8c1d8e, v17 :: v_dual_fmamk_f32 v65, v63, 0xbe8c1d8e, v22
	s_delay_alu instid0(VALU_DEP_4) | instskip(NEXT) | instid1(VALU_DEP_4)
	v_add_f32_e32 v31, v31, v39
	v_add_f32_e32 v15, v20, v15
	s_delay_alu instid0(VALU_DEP_3) | instskip(NEXT) | instid1(VALU_DEP_4)
	v_dual_add_f32 v20, v60, v23 :: v_dual_fmamk_f32 v23, v11, 0xbf763a35, v34
	v_add_f32_e32 v39, v65, v41
	v_mul_f32_e32 v41, 0x3eb8f4ab, v61
	v_fma_f32 v22, 0xbe8c1d8e, v63, -v22
	s_delay_alu instid0(VALU_DEP_4) | instskip(SKIP_1) | instid1(VALU_DEP_4)
	v_dual_fmac_f32 v34, 0x3f763a35, v11 :: v_dual_add_f32 v23, v23, v44
	v_mul_f32_e32 v44, 0x3f6eb680, v17
	v_fmamk_f32 v60, v63, 0x3f6eb680, v41
	s_delay_alu instid0(VALU_DEP_4) | instskip(NEXT) | instid1(VALU_DEP_4)
	v_add_f32_e32 v22, v22, v35
	v_dual_add_f32 v34, v34, v42 :: v_dual_mul_f32 v35, 0xbf65296c, v61
	s_delay_alu instid0(VALU_DEP_3) | instskip(SKIP_2) | instid1(VALU_DEP_4)
	v_dual_fmamk_f32 v42, v11, 0xbeb8f4ab, v44 :: v_dual_add_f32 v43, v60, v43
	v_fma_f32 v41, 0x3f6eb680, v63, -v41
	v_fmac_f32_e32 v44, 0x3eb8f4ab, v11
	v_fmamk_f32 v60, v63, 0x3ee437d1, v35
	s_delay_alu instid0(VALU_DEP_4) | instskip(NEXT) | instid1(VALU_DEP_4)
	v_add_f32_e32 v42, v42, v45
	v_dual_mul_f32 v45, 0x3ee437d1, v17 :: v_dual_add_f32 v40, v41, v40
	s_delay_alu instid0(VALU_DEP_4) | instskip(NEXT) | instid1(VALU_DEP_4)
	v_add_f32_e32 v41, v44, v47
	v_dual_add_f32 v44, v60, v48 :: v_dual_mul_f32 v47, 0xbf06c442, v61
	s_delay_alu instid0(VALU_DEP_3) | instskip(SKIP_2) | instid1(VALU_DEP_4)
	v_fmamk_f32 v48, v11, 0x3f65296c, v45
	v_fma_f32 v35, 0x3ee437d1, v63, -v35
	v_fmac_f32_e32 v45, 0xbf65296c, v11
	v_dual_mul_f32 v60, 0xbf59a7d5, v17 :: v_dual_fmamk_f32 v65, v63, 0xbf59a7d5, v47
	v_fma_f32 v47, 0xbf59a7d5, v63, -v47
	s_delay_alu instid0(VALU_DEP_4) | instskip(NEXT) | instid1(VALU_DEP_3)
	v_add_f32_e32 v35, v35, v46
	v_dual_add_f32 v45, v45, v50 :: v_dual_fmamk_f32 v46, v11, 0x3f06c442, v60
	v_mul_f32_e32 v50, 0x3f4c4adb, v61
	v_fmac_f32_e32 v60, 0xbf06c442, v11
	v_add_f32_e32 v47, v47, v51
	v_add_f32_e32 v58, v58, v67
	s_delay_alu instid0(VALU_DEP_4) | instskip(NEXT) | instid1(VALU_DEP_4)
	v_dual_add_f32 v46, v46, v55 :: v_dual_fmamk_f32 v55, v63, 0xbf1a4643, v50
	v_add_f32_e32 v51, v60, v53
	v_mul_f32_e32 v53, 0x3f2c7751, v61
	v_fma_f32 v50, 0xbf1a4643, v63, -v50
	s_delay_alu instid0(VALU_DEP_4) | instskip(NEXT) | instid1(VALU_DEP_3)
	v_dual_add_f32 v48, v48, v49 :: v_dual_add_f32 v55, v55, v56
	v_fmamk_f32 v56, v63, 0x3f3d2fb0, v53
	s_delay_alu instid0(VALU_DEP_3) | instskip(SKIP_1) | instid1(VALU_DEP_3)
	v_add_f32_e32 v50, v50, v54
	v_fma_f32 v53, 0x3f3d2fb0, v63, -v53
	v_add_f32_e32 v54, v56, v58
	v_sub_f32_e32 v56, v27, v10
	v_dual_add_f32 v10, v27, v10 :: v_dual_add_f32 v49, v65, v52
	v_mul_f32_e32 v52, 0xbf1a4643, v17
	v_mul_f32_e32 v17, 0x3f3d2fb0, v17
	v_add_f32_e32 v27, v29, v9
	v_sub_f32_e32 v9, v29, v9
	s_delay_alu instid0(VALU_DEP_4)
	v_dual_add_f32 v13, v53, v13 :: v_dual_fmamk_f32 v60, v11, 0xbf4c4adb, v52
	v_fmac_f32_e32 v52, 0x3f4c4adb, v11
	v_fmamk_f32 v58, v11, 0xbf2c7751, v17
	v_fmac_f32_e32 v17, 0x3f2c7751, v11
	v_mul_f32_e32 v11, 0xbe8c1d8e, v10
	v_dual_add_f32 v57, v60, v57 :: v_dual_mul_f32 v60, 0x3f3d2fb0, v10
	v_dual_add_f32 v52, v52, v59 :: v_dual_mul_f32 v59, 0xbf763a35, v56
	s_delay_alu instid0(VALU_DEP_4) | instskip(NEXT) | instid1(VALU_DEP_4)
	v_dual_add_f32 v29, v58, v62 :: v_dual_add_f32 v12, v17, v12
	v_fmamk_f32 v17, v9, 0x3f763a35, v11
	v_mul_f32_e32 v53, 0x3f06c442, v56
	s_delay_alu instid0(VALU_DEP_4) | instskip(SKIP_1) | instid1(VALU_DEP_4)
	v_fmamk_f32 v58, v27, 0xbe8c1d8e, v59
	v_fmac_f32_e32 v11, 0xbf763a35, v9
	v_add_f32_e32 v17, v17, v19
	s_delay_alu instid0(VALU_DEP_3) | instskip(SKIP_3) | instid1(VALU_DEP_3)
	v_dual_fmamk_f32 v19, v27, 0xbf59a7d5, v53 :: v_dual_add_f32 v14, v58, v14
	v_fma_f32 v58, 0xbe8c1d8e, v27, -v59
	v_mul_f32_e32 v59, 0xbf59a7d5, v10
	v_dual_add_f32 v11, v11, v18 :: v_dual_mul_f32 v18, 0x3f2c7751, v56
	v_dual_add_f32 v19, v19, v21 :: v_dual_add_f32 v30, v58, v30
	s_delay_alu instid0(VALU_DEP_3) | instskip(SKIP_1) | instid1(VALU_DEP_4)
	v_fmamk_f32 v21, v9, 0xbf06c442, v59
	v_fma_f32 v53, 0xbf59a7d5, v27, -v53
	v_fmamk_f32 v58, v27, 0x3f3d2fb0, v18
	v_fmac_f32_e32 v59, 0x3f06c442, v9
	v_fma_f32 v18, 0x3f3d2fb0, v27, -v18
	v_add_f32_e32 v21, v21, v31
	v_add_f32_e32 v15, v53, v15
	;; [unrolled: 1-line block ×3, first 2 shown]
	v_fmamk_f32 v39, v9, 0xbf2c7751, v60
	v_mul_f32_e32 v53, 0xbf65296c, v56
	v_fmac_f32_e32 v60, 0x3f2c7751, v9
	v_mul_f32_e32 v58, 0x3ee437d1, v10
	v_add_f32_e32 v20, v59, v20
	v_add_f32_e32 v23, v39, v23
	v_dual_fmamk_f32 v39, v27, 0x3ee437d1, v53 :: v_dual_add_f32 v18, v18, v22
	v_add_f32_e32 v22, v60, v34
	v_fmamk_f32 v34, v9, 0x3f65296c, v58
	v_mul_f32_e32 v59, 0xbe3c28d5, v56
	s_delay_alu instid0(VALU_DEP_4) | instskip(SKIP_4) | instid1(VALU_DEP_4)
	v_add_f32_e32 v39, v39, v43
	v_fma_f32 v43, 0x3ee437d1, v27, -v53
	v_fmac_f32_e32 v58, 0xbf65296c, v9
	v_add_f32_e32 v34, v34, v42
	v_dual_fmamk_f32 v42, v27, 0xbf7ba420, v59 :: v_dual_mul_f32 v53, 0xbf7ba420, v10
	v_add_f32_e32 v40, v43, v40
	v_mul_f32_e32 v43, 0x3f7ee86f, v56
	v_add_f32_e32 v41, v58, v41
	s_delay_alu instid0(VALU_DEP_4) | instskip(SKIP_4) | instid1(VALU_DEP_3)
	v_add_f32_e32 v42, v42, v44
	v_fmamk_f32 v44, v9, 0x3e3c28d5, v53
	v_fma_f32 v58, 0xbf7ba420, v27, -v59
	v_fmac_f32_e32 v53, 0xbe3c28d5, v9
	v_dual_fmamk_f32 v59, v27, 0x3dbcf732, v43 :: v_dual_mul_f32 v60, 0x3dbcf732, v10
	v_dual_add_f32 v44, v44, v48 :: v_dual_add_f32 v35, v58, v35
	s_delay_alu instid0(VALU_DEP_3)
	v_add_f32_e32 v45, v53, v45
	v_mul_f32_e32 v53, 0xbeb8f4ab, v56
	v_mul_f32_e32 v58, 0x3f6eb680, v10
	;; [unrolled: 1-line block ×3, first 2 shown]
	v_dual_add_f32 v48, v59, v49 :: v_dual_fmamk_f32 v49, v9, 0xbf7ee86f, v60
	v_fma_f32 v43, 0x3dbcf732, v27, -v43
	v_mul_f32_e32 v56, 0xbf4c4adb, v56
	v_fmac_f32_e32 v60, 0x3f7ee86f, v9
	s_delay_alu instid0(VALU_DEP_4) | instskip(SKIP_3) | instid1(VALU_DEP_4)
	v_dual_add_f32 v46, v49, v46 :: v_dual_fmamk_f32 v49, v27, 0x3f6eb680, v53
	v_fma_f32 v53, 0x3f6eb680, v27, -v53
	v_add_f32_e32 v43, v43, v47
	v_fmamk_f32 v47, v9, 0x3eb8f4ab, v58
	v_dual_fmac_f32 v58, 0xbeb8f4ab, v9 :: v_dual_add_f32 v49, v49, v55
	s_delay_alu instid0(VALU_DEP_4) | instskip(NEXT) | instid1(VALU_DEP_3)
	v_dual_add_f32 v50, v53, v50 :: v_dual_sub_f32 v53, v26, v8
	v_add_f32_e32 v47, v47, v57
	s_delay_alu instid0(VALU_DEP_3) | instskip(NEXT) | instid1(VALU_DEP_3)
	v_dual_fmamk_f32 v55, v27, 0xbf1a4643, v56 :: v_dual_add_f32 v52, v58, v52
	v_dual_add_f32 v57, v28, v16 :: v_dual_mul_f32 v58, 0xbf4c4adb, v53
	v_add_f32_e32 v8, v26, v8
	v_fma_f32 v26, 0xbf1a4643, v27, -v56
	s_delay_alu instid0(VALU_DEP_4) | instskip(SKIP_1) | instid1(VALU_DEP_4)
	v_dual_add_f32 v54, v55, v54 :: v_dual_fmamk_f32 v55, v9, 0x3f4c4adb, v10
	v_dual_fmac_f32 v10, 0xbf4c4adb, v9 :: v_dual_sub_f32 v9, v28, v16
	v_dual_fmamk_f32 v16, v57, 0xbf1a4643, v58 :: v_dual_mul_f32 v27, 0xbf1a4643, v8
	s_delay_alu instid0(VALU_DEP_4) | instskip(SKIP_1) | instid1(VALU_DEP_4)
	v_add_f32_e32 v13, v26, v13
	v_fma_f32 v26, 0xbf1a4643, v57, -v58
	v_add_f32_e32 v10, v10, v12
	s_delay_alu instid0(VALU_DEP_4)
	v_add_f32_e32 v12, v16, v14
	v_fmamk_f32 v14, v9, 0x3f4c4adb, v27
	v_mul_f32_e32 v16, 0x3f763a35, v53
	v_dual_fmac_f32 v27, 0xbf4c4adb, v9 :: v_dual_add_f32 v26, v26, v30
	v_mul_f32_e32 v30, 0xbeb8f4ab, v53
	v_dual_add_f32 v28, v55, v29 :: v_dual_mul_f32 v29, 0xbe8c1d8e, v8
	s_delay_alu instid0(VALU_DEP_4) | instskip(NEXT) | instid1(VALU_DEP_4)
	v_dual_add_f32 v14, v14, v17 :: v_dual_fmamk_f32 v17, v57, 0xbe8c1d8e, v16
	v_add_f32_e32 v11, v27, v11
	v_fma_f32 v16, 0xbe8c1d8e, v57, -v16
	s_delay_alu instid0(VALU_DEP_4)
	v_fmamk_f32 v27, v9, 0xbf763a35, v29
	v_fmac_f32_e32 v29, 0x3f763a35, v9
	v_add_f32_e32 v17, v17, v19
	v_mul_f32_e32 v55, 0xbf59a7d5, v8
	v_add_f32_e32 v15, v16, v15
	v_add_f32_e32 v19, v27, v21
	v_fmamk_f32 v21, v57, 0x3f6eb680, v30
	v_mul_f32_e32 v27, 0x3f6eb680, v8
	v_add_f32_e32 v16, v29, v20
	v_mul_f32_e32 v20, 0xbf06c442, v53
	v_fma_f32 v30, 0x3f6eb680, v57, -v30
	v_add_f32_e32 v21, v21, v31
	v_fmamk_f32 v29, v9, 0x3eb8f4ab, v27
	v_fmac_f32_e32 v27, 0xbeb8f4ab, v9
	v_fmamk_f32 v31, v57, 0xbf59a7d5, v20
	v_fma_f32 v20, 0xbf59a7d5, v57, -v20
	v_add_f32_e32 v18, v30, v18
	v_mul_f32_e32 v30, 0x3f7ee86f, v53
	v_add_f32_e32 v22, v27, v22
	v_add_f32_e32 v27, v31, v39
	v_mul_f32_e32 v31, 0x3dbcf732, v8
	v_add_f32_e32 v20, v20, v40
	s_delay_alu instid0(VALU_DEP_2) | instskip(SKIP_3) | instid1(VALU_DEP_4)
	v_dual_add_f32 v51, v60, v51 :: v_dual_fmamk_f32 v40, v9, 0xbf7ee86f, v31
	v_add_f32_e32 v23, v29, v23
	v_fmamk_f32 v29, v9, 0x3f06c442, v55
	v_fmac_f32_e32 v55, 0xbf06c442, v9
	v_dual_fmac_f32 v31, 0x3f7ee86f, v9 :: v_dual_add_f32 v40, v40, v44
	s_delay_alu instid0(VALU_DEP_3) | instskip(NEXT) | instid1(VALU_DEP_3)
	v_dual_mul_f32 v44, 0x3f3d2fb0, v8 :: v_dual_add_f32 v29, v29, v34
	v_dual_fmamk_f32 v34, v57, 0x3dbcf732, v30 :: v_dual_add_f32 v39, v55, v41
	v_mul_f32_e32 v41, 0xbf2c7751, v53
	v_fma_f32 v30, 0x3dbcf732, v57, -v30
	s_delay_alu instid0(VALU_DEP_3) | instskip(SKIP_1) | instid1(VALU_DEP_4)
	v_dual_add_f32 v31, v31, v45 :: v_dual_add_f32 v34, v34, v42
	v_fmamk_f32 v45, v9, 0x3f2c7751, v44
	v_fmamk_f32 v42, v57, 0x3f3d2fb0, v41
	s_delay_alu instid0(VALU_DEP_4) | instskip(SKIP_2) | instid1(VALU_DEP_4)
	v_dual_add_f32 v30, v30, v35 :: v_dual_mul_f32 v35, 0xbe3c28d5, v53
	v_fma_f32 v41, 0x3f3d2fb0, v57, -v41
	v_fmac_f32_e32 v44, 0xbf2c7751, v9
	v_add_f32_e32 v42, v42, v48
	s_delay_alu instid0(VALU_DEP_4) | instskip(SKIP_3) | instid1(VALU_DEP_4)
	v_dual_mul_f32 v55, 0xbf7ba420, v8 :: v_dual_fmamk_f32 v48, v57, 0xbf7ba420, v35
	v_dual_mul_f32 v8, 0x3ee437d1, v8 :: v_dual_add_f32 v45, v45, v46
	v_add_f32_e32 v41, v41, v43
	v_add_f32_e32 v43, v44, v51
	v_add_f32_e32 v44, v48, v49
	v_fmamk_f32 v46, v9, 0x3e3c28d5, v55
	v_mul_f32_e32 v48, 0x3f65296c, v53
	v_fmamk_f32 v49, v9, 0xbf65296c, v8
	v_sub_f32_e32 v51, v25, v7
	v_add_f32_e32 v7, v25, v7
	v_dual_fmac_f32 v55, 0xbe3c28d5, v9 :: v_dual_add_f32 v46, v46, v47
	v_fmamk_f32 v47, v57, 0x3ee437d1, v48
	v_dual_add_f32 v28, v49, v28 :: v_dual_add_f32 v49, v24, v6
	v_mul_f32_e32 v25, 0xbf06c442, v51
	v_fma_f32 v48, 0x3ee437d1, v57, -v48
	v_fmac_f32_e32 v8, 0x3f65296c, v9
	v_dual_sub_f32 v6, v24, v6 :: v_dual_mul_f32 v9, 0xbf59a7d5, v7
	s_delay_alu instid0(VALU_DEP_3) | instskip(NEXT) | instid1(VALU_DEP_3)
	v_dual_fmamk_f32 v24, v49, 0xbf59a7d5, v25 :: v_dual_add_f32 v13, v48, v13
	v_add_f32_e32 v8, v8, v10
	v_mul_f32_e32 v10, 0x3f65296c, v51
	s_delay_alu instid0(VALU_DEP_4) | instskip(NEXT) | instid1(VALU_DEP_4)
	v_fmamk_f32 v48, v6, 0x3f06c442, v9
	v_add_f32_e32 v12, v24, v12
	v_fma_f32 v24, 0xbf59a7d5, v49, -v25
	v_fmac_f32_e32 v9, 0xbf06c442, v6
	s_delay_alu instid0(VALU_DEP_4) | instskip(SKIP_2) | instid1(VALU_DEP_4)
	v_dual_fmamk_f32 v25, v49, 0x3ee437d1, v10 :: v_dual_add_f32 v14, v48, v14
	v_mul_f32_e32 v48, 0x3ee437d1, v7
	v_fma_f32 v35, 0xbf7ba420, v57, -v35
	v_dual_add_f32 v24, v24, v26 :: v_dual_add_f32 v9, v9, v11
	s_delay_alu instid0(VALU_DEP_4)
	v_add_f32_e32 v11, v25, v17
	v_mul_f32_e32 v17, 0xbf7ee86f, v51
	v_fmamk_f32 v25, v6, 0xbf65296c, v48
	v_fma_f32 v10, 0x3ee437d1, v49, -v10
	v_fmac_f32_e32 v48, 0x3f65296c, v6
	v_dual_mul_f32 v26, 0x3dbcf732, v7 :: v_dual_add_f32 v35, v35, v50
	v_add_f32_e32 v50, v55, v52
	v_fmamk_f32 v52, v49, 0x3dbcf732, v17
	v_add_f32_e32 v19, v25, v19
	v_dual_add_f32 v10, v10, v15 :: v_dual_add_f32 v15, v48, v16
	v_fmamk_f32 v16, v6, 0x3f7ee86f, v26
	v_mul_f32_e32 v25, 0x3f4c4adb, v51
	v_fma_f32 v17, 0x3dbcf732, v49, -v17
	v_dual_fmac_f32 v26, 0xbf7ee86f, v6 :: v_dual_add_f32 v21, v52, v21
	s_delay_alu instid0(VALU_DEP_4) | instskip(NEXT) | instid1(VALU_DEP_4)
	v_add_f32_e32 v16, v16, v23
	v_dual_mul_f32 v23, 0xbf1a4643, v7 :: v_dual_fmamk_f32 v48, v49, 0xbf1a4643, v25
	s_delay_alu instid0(VALU_DEP_4) | instskip(NEXT) | instid1(VALU_DEP_4)
	v_add_f32_e32 v17, v17, v18
	v_add_f32_e32 v18, v26, v22
	v_mul_f32_e32 v22, 0xbeb8f4ab, v51
	s_delay_alu instid0(VALU_DEP_4) | instskip(SKIP_2) | instid1(VALU_DEP_4)
	v_dual_fmamk_f32 v26, v6, 0xbf4c4adb, v23 :: v_dual_add_f32 v27, v48, v27
	v_fma_f32 v25, 0xbf1a4643, v49, -v25
	v_fmac_f32_e32 v23, 0x3f4c4adb, v6
	v_fmamk_f32 v48, v49, 0x3f6eb680, v22
	v_fma_f32 v22, 0x3f6eb680, v49, -v22
	s_delay_alu instid0(VALU_DEP_3) | instskip(NEXT) | instid1(VALU_DEP_3)
	v_dual_add_f32 v20, v25, v20 :: v_dual_add_f32 v23, v23, v39
	v_dual_add_f32 v25, v48, v34 :: v_dual_mul_f32 v34, 0xbe3c28d5, v51
	v_mul_f32_e32 v48, 0xbf7ba420, v7
	v_dual_add_f32 v26, v26, v29 :: v_dual_mul_f32 v29, 0x3f6eb680, v7
	v_add_f32_e32 v22, v22, v30
	s_delay_alu instid0(VALU_DEP_4) | instskip(NEXT) | instid1(VALU_DEP_4)
	v_fmamk_f32 v52, v49, 0xbf7ba420, v34
	v_fmamk_f32 v30, v6, 0x3e3c28d5, v48
	v_fma_f32 v34, 0xbf7ba420, v49, -v34
	v_fmamk_f32 v39, v6, 0x3eb8f4ab, v29
	v_fmac_f32_e32 v29, 0xbeb8f4ab, v6
	v_fmac_f32_e32 v48, 0xbe3c28d5, v6
	v_add_f32_e32 v30, v30, v45
	v_add_f32_e32 v41, v34, v41
	;; [unrolled: 1-line block ×4, first 2 shown]
	v_dual_add_f32 v31, v52, v42 :: v_dual_mul_f32 v40, 0x3f2c7751, v51
	v_mul_f32_e32 v42, 0x3f3d2fb0, v7
	v_add_f32_e32 v43, v48, v43
	v_mul_f32_e32 v34, 0xbf763a35, v51
	v_mul_f32_e32 v7, 0xbe8c1d8e, v7
	v_fmamk_f32 v45, v49, 0x3f3d2fb0, v40
	v_fmamk_f32 v48, v6, 0xbf2c7751, v42
	v_fma_f32 v40, 0x3f3d2fb0, v49, -v40
	v_fmac_f32_e32 v42, 0x3f2c7751, v6
	s_delay_alu instid0(VALU_DEP_4) | instskip(NEXT) | instid1(VALU_DEP_4)
	v_add_f32_e32 v44, v45, v44
	v_dual_fmamk_f32 v45, v49, 0xbe8c1d8e, v34 :: v_dual_add_f32 v46, v48, v46
	v_fma_f32 v34, 0xbe8c1d8e, v49, -v34
	v_dual_add_f32 v48, v4, v5 :: v_dual_add_f32 v49, v2, v3
	v_add_f32_e32 v47, v47, v54
	v_add_f32_e32 v42, v42, v50
	v_sub_f32_e32 v50, v2, v3
	v_dual_add_f32 v40, v40, v35 :: v_dual_fmamk_f32 v35, v6, 0x3f763a35, v7
	s_delay_alu instid0(VALU_DEP_4) | instskip(SKIP_4) | instid1(VALU_DEP_4)
	v_add_f32_e32 v45, v45, v47
	v_sub_f32_e32 v47, v4, v5
	v_mul_f32_e32 v5, 0xbf7ba420, v48
	v_fmac_f32_e32 v7, 0xbf763a35, v6
	v_dual_add_f32 v51, v35, v28 :: v_dual_add_f32 v52, v34, v13
	v_mul_f32_e32 v4, 0xbe3c28d5, v47
	s_delay_alu instid0(VALU_DEP_4) | instskip(SKIP_2) | instid1(VALU_DEP_4)
	v_fmamk_f32 v3, v50, 0x3e3c28d5, v5
	v_mul_f32_e32 v6, 0x3eb8f4ab, v47
	v_fmac_f32_e32 v5, 0xbe3c28d5, v50
	v_dual_add_f32 v53, v7, v8 :: v_dual_fmamk_f32 v2, v49, 0xbf7ba420, v4
	v_fma_f32 v4, 0xbf7ba420, v49, -v4
	s_delay_alu instid0(VALU_DEP_4) | instskip(NEXT) | instid1(VALU_DEP_4)
	v_dual_fmamk_f32 v7, v49, 0x3f6eb680, v6 :: v_dual_mul_f32 v8, 0x3f6eb680, v48
	v_add_f32_e32 v35, v5, v9
	s_delay_alu instid0(VALU_DEP_4) | instskip(NEXT) | instid1(VALU_DEP_4)
	v_dual_mul_f32 v9, 0xbf06c442, v47 :: v_dual_add_f32 v2, v2, v12
	v_add_f32_e32 v34, v4, v24
	s_delay_alu instid0(VALU_DEP_4)
	v_dual_add_f32 v4, v7, v11 :: v_dual_fmamk_f32 v5, v50, 0xbeb8f4ab, v8
	v_fma_f32 v6, 0x3f6eb680, v49, -v6
	v_fmac_f32_e32 v8, 0x3eb8f4ab, v50
	v_dual_fmamk_f32 v11, v49, 0xbf59a7d5, v9 :: v_dual_mul_f32 v12, 0xbf59a7d5, v48
	v_mul_f32_e32 v13, 0x3f2c7751, v47
	v_add_f32_e32 v3, v3, v14
	s_delay_alu instid0(VALU_DEP_4) | instskip(NEXT) | instid1(VALU_DEP_4)
	v_dual_add_f32 v6, v6, v10 :: v_dual_add_f32 v7, v8, v15
	v_add_f32_e32 v8, v11, v21
	s_delay_alu instid0(VALU_DEP_4)
	v_fmamk_f32 v14, v49, 0x3f3d2fb0, v13
	v_fmamk_f32 v10, v50, 0x3f06c442, v12
	v_fma_f32 v11, 0xbf59a7d5, v49, -v9
	v_fmac_f32_e32 v12, 0xbf06c442, v50
	v_mul_f32_e32 v15, 0x3f3d2fb0, v48
	v_add_f32_e32 v5, v5, v19
	s_delay_alu instid0(VALU_DEP_4) | instskip(NEXT) | instid1(VALU_DEP_3)
	v_dual_add_f32 v9, v10, v16 :: v_dual_add_f32 v10, v11, v17
	v_dual_add_f32 v11, v12, v18 :: v_dual_fmamk_f32 v16, v50, 0xbf2c7751, v15
	v_mul_f32_e32 v17, 0xbf4c4adb, v47
	v_add_f32_e32 v12, v14, v27
	v_fma_f32 v14, 0x3f3d2fb0, v49, -v13
	v_mul_f32_e32 v19, 0xbf1a4643, v48
	v_fmac_f32_e32 v15, 0x3f2c7751, v50
	v_dual_add_f32 v13, v16, v26 :: v_dual_fmamk_f32 v16, v49, 0xbf1a4643, v17
	s_delay_alu instid0(VALU_DEP_4) | instskip(NEXT) | instid1(VALU_DEP_4)
	v_dual_add_f32 v14, v14, v20 :: v_dual_mul_f32 v21, 0x3f65296c, v47
	v_fmamk_f32 v18, v50, 0x3f4c4adb, v19
	v_fma_f32 v20, 0xbf1a4643, v49, -v17
	v_dual_mul_f32 v24, 0x3ee437d1, v48 :: v_dual_add_f32 v15, v15, v23
	v_dual_add_f32 v16, v16, v25 :: v_dual_fmac_f32 v19, 0xbf4c4adb, v50
	v_fmamk_f32 v23, v49, 0x3ee437d1, v21
	s_delay_alu instid0(VALU_DEP_4) | instskip(NEXT) | instid1(VALU_DEP_4)
	v_dual_add_f32 v17, v18, v39 :: v_dual_add_f32 v18, v20, v22
	v_fmamk_f32 v22, v50, 0xbf65296c, v24
	v_mul_f32_e32 v25, 0xbf763a35, v47
	v_mul_f32_e32 v27, 0xbe8c1d8e, v48
	v_add_f32_e32 v19, v19, v29
	v_add_f32_e32 v20, v23, v31
	v_fma_f32 v23, 0x3ee437d1, v49, -v21
	v_fmac_f32_e32 v24, 0x3f65296c, v50
	v_dual_add_f32 v21, v22, v30 :: v_dual_fmamk_f32 v26, v49, 0xbe8c1d8e, v25
	v_fmamk_f32 v28, v50, 0x3f763a35, v27
	v_fma_f32 v29, 0xbe8c1d8e, v49, -v25
	v_mul_f32_e32 v30, 0x3f7ee86f, v47
	v_dual_mul_f32 v31, 0x3dbcf732, v48 :: v_dual_add_f32 v22, v23, v41
	v_dual_add_f32 v23, v24, v43 :: v_dual_add_f32 v24, v26, v44
	s_delay_alu instid0(VALU_DEP_4) | instskip(NEXT) | instid1(VALU_DEP_4)
	v_dual_add_f32 v25, v28, v46 :: v_dual_add_f32 v26, v29, v40
	v_fmamk_f32 v28, v49, 0x3dbcf732, v30
	s_delay_alu instid0(VALU_DEP_4) | instskip(SKIP_2) | instid1(VALU_DEP_4)
	v_fmamk_f32 v29, v50, 0xbf7ee86f, v31
	v_fma_f32 v30, 0x3dbcf732, v49, -v30
	v_fmac_f32_e32 v31, 0x3f7ee86f, v50
	v_dual_fmac_f32 v27, 0xbf763a35, v50 :: v_dual_add_f32 v28, v28, v45
	s_delay_alu instid0(VALU_DEP_3) | instskip(NEXT) | instid1(VALU_DEP_3)
	v_dual_add_f32 v29, v29, v51 :: v_dual_add_f32 v30, v30, v52
	v_add_f32_e32 v31, v31, v53
	v_add_nc_u32_e32 v39, 0x800, v158
	s_delay_alu instid0(VALU_DEP_4)
	v_add_f32_e32 v27, v27, v42
	ds_store_2addr_b64 v158, v[0:1], v[2:3] offset1:34
	ds_store_2addr_b64 v158, v[4:5], v[8:9] offset0:68 offset1:102
	ds_store_2addr_b64 v158, v[12:13], v[16:17] offset0:136 offset1:170
	;; [unrolled: 1-line block ×7, first 2 shown]
	ds_store_b64 v158, v[34:35] offset:4352
	v_add_nc_u32_e32 v4, 0x1400, v144
	v_add_nc_u32_e32 v16, 0x1c00, v144
	global_wb scope:SCOPE_SE
	s_wait_dscnt 0x0
	s_barrier_signal -1
	s_barrier_wait -1
	global_inv scope:SCOPE_SE
	ds_load_2addr_b64 v[12:15], v144 offset1:68
	ds_load_2addr_b64 v[24:27], v38 offset0:66 offset1:134
	ds_load_2addr_b64 v[0:3], v144 offset0:136 offset1:204
	;; [unrolled: 1-line block ×7, first 2 shown]
	v_add_nc_u32_e32 v38, 0xcc0, v144
	v_add_nc_u32_e32 v37, 0xee0, v144
	s_and_saveexec_b32 s0, vcc_lo
	s_cbranch_execz .LBB0_15
; %bb.14:
	ds_load_b64 v[34:35], v144 offset:4352
	ds_load_b64 v[32:33], v144 offset:8976
.LBB0_15:
	s_wait_alu 0xfffe
	s_or_b32 exec_lo, exec_lo, s0
	s_wait_dscnt 0x6
	v_mul_f32_e32 v39, v132, v25
	v_mul_f32_e32 v40, v132, v24
	v_mul_f32_e32 v41, v128, v27
	v_mul_f32_e32 v42, v128, v26
	s_wait_dscnt 0x0
	v_mul_f32_e32 v43, v120, v17
	v_fmac_f32_e32 v39, v131, v24
	v_fma_f32 v24, v131, v25, -v40
	v_mul_f32_e32 v25, v134, v29
	v_dual_mul_f32 v40, v134, v28 :: v_dual_fmac_f32 v41, v127, v26
	v_mul_f32_e32 v26, v122, v31
	v_fma_f32 v27, v127, v27, -v42
	s_delay_alu instid0(VALU_DEP_4) | instskip(NEXT) | instid1(VALU_DEP_4)
	v_fmac_f32_e32 v25, v133, v28
	v_fma_f32 v28, v133, v29, -v40
	v_dual_mul_f32 v29, v122, v30 :: v_dual_mul_f32 v40, v124, v20
	v_fmac_f32_e32 v26, v121, v30
	v_mul_f32_e32 v30, v124, v21
	v_mul_f32_e32 v42, v130, v23
	s_delay_alu instid0(VALU_DEP_4)
	v_fma_f32 v29, v121, v31, -v29
	v_mul_f32_e32 v31, v130, v22
	v_fma_f32 v40, v123, v21, -v40
	v_fmac_f32_e32 v30, v123, v20
	v_dual_mul_f32 v20, v120, v16 :: v_dual_mul_f32 v21, v126, v18
	v_mul_f32_e32 v44, v126, v19
	v_dual_fmac_f32 v42, v129, v22 :: v_dual_fmac_f32 v43, v119, v16
	v_fma_f32 v31, v129, v23, -v31
	v_sub_f32_e32 v16, v12, v39
	v_fma_f32 v39, v119, v17, -v20
	v_fma_f32 v45, v125, v19, -v21
	v_sub_f32_e32 v21, v1, v28
	v_sub_f32_e32 v17, v13, v24
	v_dual_fmac_f32 v44, v125, v18 :: v_dual_sub_f32 v19, v15, v27
	v_sub_f32_e32 v18, v14, v41
	v_dual_sub_f32 v20, v0, v25 :: v_dual_sub_f32 v27, v11, v31
	v_fma_f32 v12, v12, 2.0, -v16
	v_fma_f32 v13, v13, 2.0, -v17
	v_dual_sub_f32 v22, v2, v26 :: v_dual_sub_f32 v23, v3, v29
	v_dual_sub_f32 v24, v8, v30 :: v_dual_sub_f32 v29, v5, v39
	;; [unrolled: 1-line block ×4, first 2 shown]
	v_sub_f32_e32 v30, v6, v44
	v_fma_f32 v14, v14, 2.0, -v18
	v_fma_f32 v15, v15, 2.0, -v19
	;; [unrolled: 1-line block ×14, first 2 shown]
	ds_store_b64 v144, v[12:13]
	ds_store_b64 v159, v[16:17] offset:4624
	ds_store_b64 v144, v[14:15] offset:544
	;; [unrolled: 1-line block ×11, first 2 shown]
	ds_store_2addr_b64 v36, v[4:5], v[6:7] offset0:152 offset1:220
	ds_store_b64 v38, v[28:29] offset:4624
	ds_store_b64 v37, v[30:31] offset:4624
	s_and_saveexec_b32 s0, vcc_lo
	s_cbranch_execz .LBB0_17
; %bb.16:
	v_mul_f32_e32 v0, v118, v32
	s_delay_alu instid0(VALU_DEP_1) | instskip(NEXT) | instid1(VALU_DEP_1)
	v_fma_f32 v0, v117, v33, -v0
	v_dual_mul_f32 v2, v118, v33 :: v_dual_sub_f32 v1, v35, v0
	s_delay_alu instid0(VALU_DEP_1) | instskip(NEXT) | instid1(VALU_DEP_2)
	v_fmac_f32_e32 v2, v117, v32
	v_fma_f32 v3, v35, 2.0, -v1
	s_delay_alu instid0(VALU_DEP_2) | instskip(NEXT) | instid1(VALU_DEP_1)
	v_sub_f32_e32 v0, v34, v2
	v_fma_f32 v2, v34, 2.0, -v0
	ds_store_b64 v144, v[2:3] offset:4352
	ds_store_b64 v159, v[0:1] offset:8976
.LBB0_17:
	s_wait_alu 0xfffe
	s_or_b32 exec_lo, exec_lo, s0
	global_wb scope:SCOPE_SE
	s_wait_dscnt 0x0
	s_barrier_signal -1
	s_barrier_wait -1
	global_inv scope:SCOPE_SE
	scratch_load_b64 v[13:14], off, off offset:32 th:TH_LOAD_LU ; 8-byte Folded Reload
	ds_load_2addr_b64 v[0:3], v144 offset1:68
	v_add_nc_u32_e32 v8, 0x800, v144
	v_add_nc_u32_e32 v16, 0x1000, v144
	ds_load_2addr_b64 v[4:7], v144 offset0:136 offset1:204
	v_add_nc_u32_e32 v50, 0x1800, v144
	v_mad_co_u64_u32 v[24:25], null, s6, v64, 0
	v_mad_co_u64_u32 v[26:27], null, s4, v143, 0
	s_mov_b32 s8, 0xd10d4986
	s_mov_b32 s9, 0x3f4c5894
	s_mul_u64 s[0:1], s[4:5], 0x220
	s_delay_alu instid0(VALU_DEP_1) | instskip(SKIP_3) | instid1(VALU_DEP_1)
	v_mad_co_u64_u32 v[36:37], null, s7, v64, v[25:26]
	s_wait_dscnt 0x1
	v_mul_f32_e32 v11, v80, v3
	s_wait_dscnt 0x0
	v_dual_mul_f32 v40, v84, v7 :: v_dual_fmac_f32 v11, v79, v2
	s_delay_alu instid0(VALU_DEP_1) | instskip(NEXT) | instid1(VALU_DEP_2)
	v_fmac_f32_e32 v40, v83, v6
	v_cvt_f64_f32_e32 v[32:33], v11
	s_wait_alu 0xfffe
	s_delay_alu instid0(VALU_DEP_1) | instskip(SKIP_3) | instid1(VALU_DEP_2)
	v_mul_f64_e32 v[32:33], s[8:9], v[32:33]
	s_wait_loadcnt 0x0
	v_mul_f32_e32 v9, v14, v1
	v_mul_f32_e32 v10, v14, v0
	v_dual_mul_f32 v12, v80, v2 :: v_dual_fmac_f32 v9, v13, v0
	s_delay_alu instid0(VALU_DEP_2) | instskip(NEXT) | instid1(VALU_DEP_2)
	v_fma_f32 v10, v13, v1, -v10
	v_fma_f32 v12, v79, v3, -v12
	ds_load_2addr_b64 v[0:3], v8 offset0:16 offset1:84
	v_cvt_f64_f32_e32 v[28:29], v9
	v_cvt_f64_f32_e32 v[30:31], v10
	;; [unrolled: 1-line block ×3, first 2 shown]
	ds_load_2addr_b64 v[8:11], v8 offset0:152 offset1:220
	ds_load_2addr_b64 v[12:15], v16 offset0:32 offset1:100
	;; [unrolled: 1-line block ×4, first 2 shown]
	s_clause 0x1
	scratch_load_b64 v[42:43], off, off offset:48 th:TH_LOAD_LU
	scratch_load_b64 v[60:61], off, off offset:24 th:TH_LOAD_LU
	s_wait_dscnt 0x4
	v_dual_mul_f32 v41, v84, v6 :: v_dual_mul_f32 v46, v94, v3
	s_wait_dscnt 0x1
	v_dual_mul_f32 v54, v86, v15 :: v_dual_mul_f32 v59, v92, v18
	v_dual_mul_f32 v52, v82, v13 :: v_dual_mul_f32 v57, v88, v16
	;; [unrolled: 1-line block ×3, first 2 shown]
	s_delay_alu instid0(VALU_DEP_3) | instskip(NEXT) | instid1(VALU_DEP_4)
	v_fmac_f32_e32 v54, v85, v14
	v_fma_f32 v59, v91, v19, -v59
	s_delay_alu instid0(VALU_DEP_4) | instskip(NEXT) | instid1(VALU_DEP_4)
	v_fma_f32 v57, v87, v17, -v57
	v_fma_f32 v53, v81, v13, -v53
	v_mul_f32_e32 v55, v86, v14
	s_delay_alu instid0(VALU_DEP_1)
	v_fma_f32 v55, v85, v15, -v55
	v_mad_co_u64_u32 v[37:38], null, s5, v143, v[27:28]
	v_mul_f32_e32 v44, v94, v2
	v_mul_f64_e32 v[28:29], s[8:9], v[28:29]
	v_mul_f64_e32 v[30:31], s[8:9], v[30:31]
	;; [unrolled: 1-line block ×3, first 2 shown]
	s_delay_alu instid0(VALU_DEP_3) | instskip(NEXT) | instid1(VALU_DEP_3)
	v_cvt_f32_f64_e32 v28, v[28:29]
	v_cvt_f32_f64_e32 v29, v[30:31]
	;; [unrolled: 1-line block ×3, first 2 shown]
	s_delay_alu instid0(VALU_DEP_4) | instskip(SKIP_3) | instid1(VALU_DEP_2)
	v_cvt_f32_f64_e32 v31, v[34:35]
	s_wait_loadcnt 0x1
	v_mul_f32_e32 v25, v43, v5
	v_mul_f32_e32 v39, v43, v4
	v_fmac_f32_e32 v25, v42, v4
	s_delay_alu instid0(VALU_DEP_2)
	v_fma_f32 v27, v42, v5, -v39
	v_mul_f32_e32 v42, v90, v1
	v_fma_f32 v41, v83, v7, -v41
	v_cvt_f64_f32_e32 v[38:39], v40
	v_cvt_f64_f32_e32 v[4:5], v25
	v_mov_b32_e32 v25, v36
	v_dual_mul_f32 v43, v90, v0 :: v_dual_fmac_f32 v46, v93, v2
	v_cvt_f64_f32_e32 v[6:7], v27
	v_fmac_f32_e32 v42, v89, v0
	v_mov_b32_e32 v27, v37
	s_delay_alu instid0(VALU_DEP_4)
	v_fma_f32 v0, v89, v1, -v43
	v_fma_f32 v1, v93, v3, -v44
	s_wait_loadcnt 0x0
	v_mul_f32_e32 v36, v61, v8
	v_cvt_f64_f32_e32 v[46:47], v46
	v_cvt_f64_f32_e32 v[40:41], v41
	v_cvt_f64_f32_e32 v[44:45], v0
	v_cvt_f64_f32_e32 v[48:49], v1
	ds_load_2addr_b64 v[0:3], v50 offset0:184 offset1:252
	v_mul_f32_e32 v50, v61, v9
	scratch_load_b64 v[61:62], off, off offset:40 th:TH_LOAD_LU ; 8-byte Folded Reload
	v_lshlrev_b64_e32 v[24:25], 3, v[24:25]
	v_lshlrev_b64_e32 v[26:27], 3, v[26:27]
	v_fmac_f32_e32 v52, v81, v12
	s_delay_alu instid0(VALU_DEP_1)
	v_cvt_f64_f32_e32 v[34:35], v52
	v_mul_f64_e32 v[4:5], s[8:9], v[4:5]
	v_mul_f64_e32 v[6:7], s[8:9], v[6:7]
	;; [unrolled: 1-line block ×3, first 2 shown]
	v_add_co_u32 v44, vcc_lo, s2, v24
	s_wait_alu 0xfffd
	v_add_co_ci_u32_e32 v45, vcc_lo, s3, v25, vcc_lo
	s_delay_alu instid0(VALU_DEP_2) | instskip(SKIP_1) | instid1(VALU_DEP_2)
	v_add_co_u32 v26, vcc_lo, v44, v26
	s_wait_alu 0xfffd
	v_add_co_ci_u32_e32 v27, vcc_lo, v45, v27, vcc_lo
	v_cvt_f64_f32_e32 v[44:45], v55
	v_mul_f64_e32 v[34:35], s[8:9], v[34:35]
	v_cvt_f32_f64_e32 v4, v[4:5]
	v_cvt_f32_f64_e32 v5, v[6:7]
	s_delay_alu instid0(VALU_DEP_4) | instskip(NEXT) | instid1(VALU_DEP_4)
	v_mul_f64_e32 v[44:45], s[8:9], v[44:45]
	v_cvt_f32_f64_e32 v34, v[34:35]
	s_wait_loadcnt 0x0
	v_mul_f32_e32 v51, v62, v11
	v_cvt_f64_f32_e32 v[42:43], v42
	v_dual_mul_f32 v37, v62, v10 :: v_dual_mul_f32 v58, v92, v19
	v_fmac_f32_e32 v50, v60, v8
	v_fma_f32 v60, v60, v9, -v36
	v_fmac_f32_e32 v51, v61, v10
	s_delay_alu instid0(VALU_DEP_4)
	v_fma_f32 v61, v61, v11, -v37
	v_mul_f64_e32 v[36:37], s[8:9], v[46:47]
	v_add_co_u32 v46, vcc_lo, v26, s0
	s_wait_alu 0xfffd
	v_add_co_ci_u32_e32 v47, vcc_lo, s1, v27, vcc_lo
	s_clause 0x1
	global_store_b64 v[26:27], v[28:29], off
	global_store_b64 v[46:47], v[30:31], off
	ds_load_b64 v[26:27], v144 offset:8704
	v_fmac_f32_e32 v56, v87, v16
	v_cvt_f64_f32_e32 v[16:17], v50
	v_add_co_u32 v50, vcc_lo, v46, s0
	v_mul_f64_e32 v[10:11], s[8:9], v[40:41]
	v_cvt_f64_f32_e32 v[24:25], v51
	v_cvt_f64_f32_e32 v[40:41], v53
	s_wait_alu 0xfffd
	v_add_co_ci_u32_e32 v51, vcc_lo, s1, v47, vcc_lo
	s_clause 0x1
	scratch_load_b64 v[46:47], off, off th:TH_LOAD_LU
	scratch_load_b64 v[52:53], off, off offset:16 th:TH_LOAD_LU
	v_mul_f64_e32 v[8:9], s[8:9], v[38:39]
	v_mul_f64_e32 v[38:39], s[8:9], v[48:49]
	v_fmac_f32_e32 v58, v91, v18
	v_cvt_f64_f32_e32 v[18:19], v60
	v_cvt_f64_f32_e32 v[32:33], v61
	;; [unrolled: 1-line block ×3, first 2 shown]
	v_mul_f64_e32 v[12:13], s[8:9], v[42:43]
	v_cvt_f64_f32_e32 v[42:43], v54
	scratch_load_b64 v[54:55], off, off offset:8 th:TH_LOAD_LU ; 8-byte Folded Reload
	v_mul_f64_e32 v[16:17], s[8:9], v[16:17]
	v_cvt_f32_f64_e32 v7, v[10:11]
	v_cvt_f32_f64_e32 v10, v[36:37]
	v_mul_f64_e32 v[24:25], s[8:9], v[24:25]
	v_mul_f64_e32 v[40:41], s[8:9], v[40:41]
	v_cvt_f32_f64_e32 v6, v[8:9]
	v_cvt_f32_f64_e32 v11, v[38:39]
	;; [unrolled: 1-line block ×3, first 2 shown]
	v_cvt_f64_f32_e32 v[14:15], v58
	v_mul_f64_e32 v[18:19], s[8:9], v[18:19]
	v_mul_f64_e32 v[32:33], s[8:9], v[32:33]
	v_cvt_f32_f64_e32 v8, v[12:13]
	v_cvt_f64_f32_e32 v[12:13], v57
	v_mul_f64_e32 v[42:43], s[8:9], v[42:43]
	v_cvt_f32_f64_e32 v16, v[16:17]
	v_cvt_f32_f64_e32 v24, v[24:25]
	;; [unrolled: 1-line block ×5, first 2 shown]
	v_mul_f64_e32 v[12:13], s[8:9], v[12:13]
	s_delay_alu instid0(VALU_DEP_1)
	v_cvt_f32_f64_e32 v41, v[12:13]
	s_wait_loadcnt_dscnt 0x202
	v_mul_f32_e32 v30, v47, v21
	s_wait_loadcnt 0x1
	v_dual_mul_f32 v31, v47, v20 :: v_dual_mul_f32 v36, v53, v23
	v_mul_f32_e32 v37, v53, v22
	s_wait_dscnt 0x0
	v_mul_f32_e32 v53, v98, v26
	v_cvt_f64_f32_e32 v[48:49], v56
	v_fmac_f32_e32 v30, v46, v20
	v_fma_f32 v31, v46, v21, -v31
	v_mul_f32_e32 v46, v96, v3
	v_mul_f32_e32 v47, v96, v2
	v_fmac_f32_e32 v36, v52, v22
	v_fma_f32 v37, v52, v23, -v37
	v_mul_f32_e32 v52, v98, v27
	v_fmac_f32_e32 v46, v95, v2
	v_fma_f32 v47, v95, v3, -v47
	s_wait_loadcnt 0x0
	v_mul_f32_e32 v38, v55, v1
	v_fma_f32 v53, v97, v27, -v53
	v_fmac_f32_e32 v52, v97, v26
	v_cvt_f64_f32_e32 v[20:21], v30
	v_cvt_f64_f32_e32 v[22:23], v31
	v_fmac_f32_e32 v38, v54, v0
	v_mul_f32_e32 v0, v55, v0
	v_cvt_f64_f32_e32 v[30:31], v36
	v_cvt_f64_f32_e32 v[36:37], v37
	;; [unrolled: 1-line block ×4, first 2 shown]
	v_fma_f32 v0, v54, v1, -v0
	v_cvt_f64_f32_e32 v[26:27], v47
	v_cvt_f64_f32_e32 v[46:47], v52
	;; [unrolled: 1-line block ×3, first 2 shown]
	v_add_co_u32 v54, vcc_lo, v50, s0
	v_cvt_f64_f32_e32 v[0:1], v0
	s_wait_alu 0xfffd
	v_add_co_ci_u32_e32 v55, vcc_lo, s1, v51, vcc_lo
	s_delay_alu instid0(VALU_DEP_3) | instskip(SKIP_1) | instid1(VALU_DEP_2)
	v_add_co_u32 v56, vcc_lo, v54, s0
	s_wait_alu 0xfffd
	v_add_co_ci_u32_e32 v57, vcc_lo, s1, v55, vcc_lo
	s_delay_alu instid0(VALU_DEP_2) | instskip(SKIP_2) | instid1(VALU_DEP_3)
	v_add_co_u32 v58, vcc_lo, v56, s0
	v_mul_f64_e32 v[48:49], s[8:9], v[48:49]
	s_wait_alu 0xfffd
	v_add_co_ci_u32_e32 v59, vcc_lo, s1, v57, vcc_lo
	s_clause 0x2
	global_store_b64 v[50:51], v[4:5], off
	global_store_b64 v[54:55], v[6:7], off
	;; [unrolled: 1-line block ×4, first 2 shown]
	v_mul_f64_e32 v[4:5], s[8:9], v[14:15]
	v_mul_f64_e32 v[6:7], s[8:9], v[28:29]
	v_add_co_u32 v18, vcc_lo, v58, s0
	s_wait_alu 0xfffd
	v_add_co_ci_u32_e32 v19, vcc_lo, s1, v59, vcc_lo
	s_delay_alu instid0(VALU_DEP_2)
	v_add_co_u32 v32, vcc_lo, v18, s0
	v_mul_f64_e32 v[8:9], s[8:9], v[20:21]
	v_mul_f64_e32 v[10:11], s[8:9], v[22:23]
	s_wait_alu 0xfffd
	v_add_co_ci_u32_e32 v33, vcc_lo, s1, v19, vcc_lo
	v_mul_f64_e32 v[14:15], s[8:9], v[30:31]
	v_mul_f64_e32 v[20:21], s[8:9], v[36:37]
	;; [unrolled: 1-line block ×4, first 2 shown]
	v_cvt_f32_f64_e32 v38, v[42:43]
	v_mul_f64_e32 v[26:27], s[8:9], v[26:27]
	v_mul_f64_e32 v[28:29], s[8:9], v[46:47]
	;; [unrolled: 1-line block ×3, first 2 shown]
	v_cvt_f32_f64_e32 v39, v[44:45]
	v_add_co_u32 v36, vcc_lo, v32, s0
	v_mul_f64_e32 v[0:1], s[8:9], v[0:1]
	s_wait_alu 0xfffd
	v_add_co_ci_u32_e32 v37, vcc_lo, s1, v33, vcc_lo
	s_delay_alu instid0(VALU_DEP_3)
	v_add_co_u32 v12, vcc_lo, v36, s0
	global_store_b64 v[18:19], v[16:17], off
	s_wait_alu 0xfffd
	v_add_co_ci_u32_e32 v13, vcc_lo, s1, v37, vcc_lo
	global_store_b64 v[32:33], v[24:25], off
	global_store_b64 v[36:37], v[34:35], off
	v_cvt_f32_f64_e32 v40, v[48:49]
	v_cvt_f32_f64_e32 v4, v[4:5]
	v_cvt_f32_f64_e32 v5, v[6:7]
	v_cvt_f32_f64_e32 v6, v[8:9]
	v_cvt_f32_f64_e32 v7, v[10:11]
	v_cvt_f32_f64_e32 v8, v[14:15]
	v_cvt_f32_f64_e32 v9, v[20:21]
	v_add_co_u32 v14, vcc_lo, v12, s0
	v_cvt_f32_f64_e32 v10, v[22:23]
	s_wait_alu 0xfffd
	v_add_co_ci_u32_e32 v15, vcc_lo, s1, v13, vcc_lo
	s_delay_alu instid0(VALU_DEP_3)
	v_add_co_u32 v16, vcc_lo, v14, s0
	global_store_b64 v[12:13], v[38:39], off
	s_wait_alu 0xfffd
	v_add_co_ci_u32_e32 v17, vcc_lo, s1, v15, vcc_lo
	v_cvt_f32_f64_e32 v11, v[0:1]
	v_cvt_f32_f64_e32 v0, v[2:3]
	;; [unrolled: 1-line block ×5, first 2 shown]
	v_add_co_u32 v18, vcc_lo, v16, s0
	s_wait_alu 0xfffd
	v_add_co_ci_u32_e32 v19, vcc_lo, s1, v17, vcc_lo
	global_store_b64 v[14:15], v[40:41], off
	v_add_co_u32 v20, vcc_lo, v18, s0
	s_wait_alu 0xfffd
	v_add_co_ci_u32_e32 v21, vcc_lo, s1, v19, vcc_lo
	global_store_b64 v[16:17], v[4:5], off
	v_add_co_u32 v12, vcc_lo, v20, s0
	s_wait_alu 0xfffd
	v_add_co_ci_u32_e32 v13, vcc_lo, s1, v21, vcc_lo
	s_delay_alu instid0(VALU_DEP_2) | instskip(SKIP_1) | instid1(VALU_DEP_2)
	v_add_co_u32 v14, vcc_lo, v12, s0
	s_wait_alu 0xfffd
	v_add_co_ci_u32_e32 v15, vcc_lo, s1, v13, vcc_lo
	s_delay_alu instid0(VALU_DEP_2) | instskip(SKIP_1) | instid1(VALU_DEP_2)
	v_add_co_u32 v4, vcc_lo, v14, s0
	s_wait_alu 0xfffd
	v_add_co_ci_u32_e32 v5, vcc_lo, s1, v15, vcc_lo
	global_store_b64 v[18:19], v[6:7], off
	global_store_b64 v[20:21], v[8:9], off
	;; [unrolled: 1-line block ×5, first 2 shown]
.LBB0_18:
	s_nop 0
	s_sendmsg sendmsg(MSG_DEALLOC_VGPRS)
	s_endpgm
	.section	.rodata,"a",@progbits
	.p2align	6, 0x0
	.amdhsa_kernel bluestein_single_fwd_len1156_dim1_sp_op_CI_CI
		.amdhsa_group_segment_fixed_size 27744
		.amdhsa_private_segment_fixed_size 100
		.amdhsa_kernarg_size 104
		.amdhsa_user_sgpr_count 2
		.amdhsa_user_sgpr_dispatch_ptr 0
		.amdhsa_user_sgpr_queue_ptr 0
		.amdhsa_user_sgpr_kernarg_segment_ptr 1
		.amdhsa_user_sgpr_dispatch_id 0
		.amdhsa_user_sgpr_private_segment_size 0
		.amdhsa_wavefront_size32 1
		.amdhsa_uses_dynamic_stack 0
		.amdhsa_enable_private_segment 1
		.amdhsa_system_sgpr_workgroup_id_x 1
		.amdhsa_system_sgpr_workgroup_id_y 0
		.amdhsa_system_sgpr_workgroup_id_z 0
		.amdhsa_system_sgpr_workgroup_info 0
		.amdhsa_system_vgpr_workitem_id 0
		.amdhsa_next_free_vgpr 256
		.amdhsa_next_free_sgpr 20
		.amdhsa_reserve_vcc 1
		.amdhsa_float_round_mode_32 0
		.amdhsa_float_round_mode_16_64 0
		.amdhsa_float_denorm_mode_32 3
		.amdhsa_float_denorm_mode_16_64 3
		.amdhsa_fp16_overflow 0
		.amdhsa_workgroup_processor_mode 1
		.amdhsa_memory_ordered 1
		.amdhsa_forward_progress 0
		.amdhsa_round_robin_scheduling 0
		.amdhsa_exception_fp_ieee_invalid_op 0
		.amdhsa_exception_fp_denorm_src 0
		.amdhsa_exception_fp_ieee_div_zero 0
		.amdhsa_exception_fp_ieee_overflow 0
		.amdhsa_exception_fp_ieee_underflow 0
		.amdhsa_exception_fp_ieee_inexact 0
		.amdhsa_exception_int_div_zero 0
	.end_amdhsa_kernel
	.text
.Lfunc_end0:
	.size	bluestein_single_fwd_len1156_dim1_sp_op_CI_CI, .Lfunc_end0-bluestein_single_fwd_len1156_dim1_sp_op_CI_CI
                                        ; -- End function
	.section	.AMDGPU.csdata,"",@progbits
; Kernel info:
; codeLenInByte = 31036
; NumSgprs: 22
; NumVgprs: 256
; ScratchSize: 100
; MemoryBound: 0
; FloatMode: 240
; IeeeMode: 1
; LDSByteSize: 27744 bytes/workgroup (compile time only)
; SGPRBlocks: 2
; VGPRBlocks: 31
; NumSGPRsForWavesPerEU: 22
; NumVGPRsForWavesPerEU: 256
; Occupancy: 5
; WaveLimiterHint : 1
; COMPUTE_PGM_RSRC2:SCRATCH_EN: 1
; COMPUTE_PGM_RSRC2:USER_SGPR: 2
; COMPUTE_PGM_RSRC2:TRAP_HANDLER: 0
; COMPUTE_PGM_RSRC2:TGID_X_EN: 1
; COMPUTE_PGM_RSRC2:TGID_Y_EN: 0
; COMPUTE_PGM_RSRC2:TGID_Z_EN: 0
; COMPUTE_PGM_RSRC2:TIDIG_COMP_CNT: 0
	.text
	.p2alignl 7, 3214868480
	.fill 96, 4, 3214868480
	.type	__hip_cuid_79cad290477370a6,@object ; @__hip_cuid_79cad290477370a6
	.section	.bss,"aw",@nobits
	.globl	__hip_cuid_79cad290477370a6
__hip_cuid_79cad290477370a6:
	.byte	0                               ; 0x0
	.size	__hip_cuid_79cad290477370a6, 1

	.ident	"AMD clang version 19.0.0git (https://github.com/RadeonOpenCompute/llvm-project roc-6.4.0 25133 c7fe45cf4b819c5991fe208aaa96edf142730f1d)"
	.section	".note.GNU-stack","",@progbits
	.addrsig
	.addrsig_sym __hip_cuid_79cad290477370a6
	.amdgpu_metadata
---
amdhsa.kernels:
  - .args:
      - .actual_access:  read_only
        .address_space:  global
        .offset:         0
        .size:           8
        .value_kind:     global_buffer
      - .actual_access:  read_only
        .address_space:  global
        .offset:         8
        .size:           8
        .value_kind:     global_buffer
      - .actual_access:  read_only
        .address_space:  global
        .offset:         16
        .size:           8
        .value_kind:     global_buffer
      - .actual_access:  read_only
        .address_space:  global
        .offset:         24
        .size:           8
        .value_kind:     global_buffer
      - .actual_access:  read_only
        .address_space:  global
        .offset:         32
        .size:           8
        .value_kind:     global_buffer
      - .offset:         40
        .size:           8
        .value_kind:     by_value
      - .address_space:  global
        .offset:         48
        .size:           8
        .value_kind:     global_buffer
      - .address_space:  global
        .offset:         56
        .size:           8
        .value_kind:     global_buffer
      - .address_space:  global
        .offset:         64
        .size:           8
        .value_kind:     global_buffer
      - .address_space:  global
        .offset:         72
        .size:           8
        .value_kind:     global_buffer
      - .offset:         80
        .size:           4
        .value_kind:     by_value
      - .address_space:  global
        .offset:         88
        .size:           8
        .value_kind:     global_buffer
      - .address_space:  global
        .offset:         96
        .size:           8
        .value_kind:     global_buffer
    .group_segment_fixed_size: 27744
    .kernarg_segment_align: 8
    .kernarg_segment_size: 104
    .language:       OpenCL C
    .language_version:
      - 2
      - 0
    .max_flat_workgroup_size: 204
    .name:           bluestein_single_fwd_len1156_dim1_sp_op_CI_CI
    .private_segment_fixed_size: 100
    .sgpr_count:     22
    .sgpr_spill_count: 0
    .symbol:         bluestein_single_fwd_len1156_dim1_sp_op_CI_CI.kd
    .uniform_work_group_size: 1
    .uses_dynamic_stack: false
    .vgpr_count:     256
    .vgpr_spill_count: 24
    .wavefront_size: 32
    .workgroup_processor_mode: 1
amdhsa.target:   amdgcn-amd-amdhsa--gfx1201
amdhsa.version:
  - 1
  - 2
...

	.end_amdgpu_metadata
